;; amdgpu-corpus repo=ROCm/rocFFT kind=compiled arch=gfx1030 opt=O3
	.text
	.amdgcn_target "amdgcn-amd-amdhsa--gfx1030"
	.amdhsa_code_object_version 6
	.protected	fft_rtc_back_len4096_factors_8_16_4_8_wgs_256_tpt_128_halfLds_dim3_sp_op_CI_CI_unitstride_sbrr_dirReg ; -- Begin function fft_rtc_back_len4096_factors_8_16_4_8_wgs_256_tpt_128_halfLds_dim3_sp_op_CI_CI_unitstride_sbrr_dirReg
	.globl	fft_rtc_back_len4096_factors_8_16_4_8_wgs_256_tpt_128_halfLds_dim3_sp_op_CI_CI_unitstride_sbrr_dirReg
	.p2align	8
	.type	fft_rtc_back_len4096_factors_8_16_4_8_wgs_256_tpt_128_halfLds_dim3_sp_op_CI_CI_unitstride_sbrr_dirReg,@function
fft_rtc_back_len4096_factors_8_16_4_8_wgs_256_tpt_128_halfLds_dim3_sp_op_CI_CI_unitstride_sbrr_dirReg: ; @fft_rtc_back_len4096_factors_8_16_4_8_wgs_256_tpt_128_halfLds_dim3_sp_op_CI_CI_unitstride_sbrr_dirReg
; %bb.0:
	s_load_dwordx2 s[2:3], s[4:5], 0x8
	v_mov_b32_e32 v1, 0
	v_mov_b32_e32 v2, 0
	v_lshrrev_b32_e32 v105, 7, v0
	v_mov_b32_e32 v4, 0
	v_mov_b32_e32 v6, v2
	v_lshl_or_b32 v3, s6, 1, v105
	v_mov_b32_e32 v5, v1
	s_mov_b32 s6, exec_lo
	s_waitcnt lgkmcnt(0)
	s_load_dwordx2 s[0:1], s[2:3], 0x8
	s_waitcnt lgkmcnt(0)
	v_cmpx_le_u64_e64 s[0:1], v[3:4]
	s_cbranch_execz .LBB0_2
; %bb.1:
	v_cvt_f32_u32_e32 v5, s0
	s_sub_i32 s7, 0, s0
	v_rcp_iflag_f32_e32 v5, v5
	v_mul_f32_e32 v5, 0x4f7ffffe, v5
	v_cvt_u32_f32_e32 v5, v5
	v_mul_lo_u32 v6, s7, v5
	v_mul_hi_u32 v6, v5, v6
	v_add_nc_u32_e32 v5, v5, v6
	v_mul_hi_u32 v5, v3, v5
	v_mul_lo_u32 v6, v5, s0
	v_add_nc_u32_e32 v7, 1, v5
	v_sub_nc_u32_e32 v6, v3, v6
	v_subrev_nc_u32_e32 v8, s0, v6
	v_cmp_le_u32_e32 vcc_lo, s0, v6
	v_cndmask_b32_e32 v6, v6, v8, vcc_lo
	v_cndmask_b32_e32 v5, v5, v7, vcc_lo
	v_cmp_le_u32_e32 vcc_lo, s0, v6
	v_add_nc_u32_e32 v7, 1, v5
	v_mov_b32_e32 v6, v4
	v_cndmask_b32_e32 v5, v5, v7, vcc_lo
.LBB0_2:
	s_or_b32 exec_lo, exec_lo, s6
	s_load_dwordx2 s[2:3], s[2:3], 0x10
	s_mov_b32 s6, exec_lo
	s_waitcnt lgkmcnt(0)
	v_cmpx_le_u64_e64 s[2:3], v[5:6]
	s_cbranch_execz .LBB0_4
; %bb.3:
	v_cvt_f32_u32_e32 v1, s2
	s_sub_i32 s7, 0, s2
	v_rcp_iflag_f32_e32 v1, v1
	v_mul_f32_e32 v1, 0x4f7ffffe, v1
	v_cvt_u32_f32_e32 v1, v1
	v_mul_lo_u32 v2, s7, v1
	v_mul_hi_u32 v2, v1, v2
	v_add_nc_u32_e32 v1, v1, v2
	v_mul_hi_u32 v1, v5, v1
	v_mul_lo_u32 v2, v1, s2
	v_add_nc_u32_e32 v4, 1, v1
	v_sub_nc_u32_e32 v2, v5, v2
	v_subrev_nc_u32_e32 v7, s2, v2
	v_cmp_le_u32_e32 vcc_lo, s2, v2
	v_cndmask_b32_e32 v2, v2, v7, vcc_lo
	v_cndmask_b32_e32 v1, v1, v4, vcc_lo
	v_cmp_le_u32_e32 vcc_lo, s2, v2
	v_add_nc_u32_e32 v4, 1, v1
	v_mov_b32_e32 v2, 0
	v_cndmask_b32_e32 v1, v1, v4, vcc_lo
.LBB0_4:
	s_or_b32 exec_lo, exec_lo, s6
	v_mad_u64_u32 v[7:8], null, v5, s0, 0
	s_clause 0x1
	s_load_dwordx4 s[8:11], s[4:5], 0x18
	s_load_dwordx2 s[6:7], s[4:5], 0x0
	v_mad_u64_u32 v[9:10], null, v1, s2, 0
	v_and_b32_e32 v69, 0x7f, v0
	v_or_b32_e32 v80, 0x380, v0
	v_mov_b32_e32 v4, v8
	v_or_b32_e32 v79, 0x780, v0
	v_or_b32_e32 v78, 0xb80, v0
	;; [unrolled: 1-line block ×3, first 2 shown]
	v_mov_b32_e32 v8, v10
	v_mad_u64_u32 v[10:11], null, v5, s1, v[4:5]
	v_sub_co_u32 v70, s1, v3, v7
	v_mad_u64_u32 v[11:12], null, v1, s3, v[8:9]
                                        ; implicit-def: $sgpr2_sgpr3
                                        ; implicit-def: $vgpr76
                                        ; implicit-def: $vgpr74
                                        ; implicit-def: $vgpr75
                                        ; implicit-def: $vgpr81
                                        ; implicit-def: $vgpr88
                                        ; implicit-def: $vgpr95
                                        ; implicit-def: $vgpr82
                                        ; implicit-def: $vgpr89
                                        ; implicit-def: $vgpr96
                                        ; implicit-def: $vgpr102
                                        ; implicit-def: $vgpr83
                                        ; implicit-def: $vgpr90
                                        ; implicit-def: $vgpr97
                                        ; implicit-def: $vgpr84
                                        ; implicit-def: $vgpr91
                                        ; implicit-def: $vgpr98
                                        ; implicit-def: $vgpr103
                                        ; implicit-def: $vgpr85
                                        ; implicit-def: $vgpr92
                                        ; implicit-def: $vgpr99
                                        ; implicit-def: $vgpr86
                                        ; implicit-def: $vgpr93
                                        ; implicit-def: $vgpr100
                                        ; implicit-def: $vgpr104
                                        ; implicit-def: $vgpr87
                                        ; implicit-def: $vgpr94
                                        ; implicit-def: $vgpr101
	s_waitcnt lgkmcnt(0)
	v_cmp_gt_u64_e32 vcc_lo, s[10:11], v[1:2]
	v_cmp_le_u64_e64 s0, s[10:11], v[1:2]
	v_mov_b32_e32 v2, v10
	v_mov_b32_e32 v4, v11
	v_sub_co_ci_u32_e64 v71, s1, 0, v2, s1
	v_sub_co_u32 v72, s1, v5, v9
	v_sub_co_ci_u32_e64 v73, s1, v6, v4, s1
	s_and_saveexec_b32 s1, s0
	s_xor_b32 s0, exec_lo, s1
	s_cbranch_execz .LBB0_6
; %bb.5:
	v_and_b32_e32 v69, 0x7f, v0
	v_or_b32_e32 v80, 0x380, v0
	v_or_b32_e32 v79, 0x780, v0
	;; [unrolled: 1-line block ×31, first 2 shown]
	s_mov_b64 s[2:3], 0
.LBB0_6:
	s_or_saveexec_b32 s14, s0
	v_mov_b32_e32 v2, s2
	v_mov_b32_e32 v60, s3
	;; [unrolled: 1-line block ×32, first 2 shown]
                                        ; implicit-def: $vgpr68
                                        ; implicit-def: $vgpr62
                                        ; implicit-def: $vgpr66
                                        ; implicit-def: $vgpr64
                                        ; implicit-def: $vgpr54
                                        ; implicit-def: $vgpr52
                                        ; implicit-def: $vgpr56
                                        ; implicit-def: $vgpr48
                                        ; implicit-def: $vgpr44
                                        ; implicit-def: $vgpr50
                                        ; implicit-def: $vgpr46
                                        ; implicit-def: $vgpr38
                                        ; implicit-def: $vgpr34
                                        ; implicit-def: $vgpr40
                                        ; implicit-def: $vgpr36
                                        ; implicit-def: $vgpr58
	s_xor_b32 exec_lo, exec_lo, s14
	s_cbranch_execz .LBB0_8
; %bb.7:
	s_clause 0x1
	s_load_dwordx2 s[0:1], s[4:5], 0x10
	s_load_dwordx2 s[10:11], s[4:5], 0x50
	v_or_b32_e32 v81, 0x200, v69
	v_lshlrev_b32_e32 v8, 3, v69
	v_or_b32_e32 v82, 0x400, v69
	v_or_b32_e32 v83, 0x600, v69
	;; [unrolled: 1-line block ×3, first 2 shown]
	v_lshlrev_b32_e32 v10, 3, v81
	v_or_b32_e32 v85, 0xa00, v69
	v_lshlrev_b32_e32 v11, 3, v82
	v_lshlrev_b32_e32 v15, 3, v83
	;; [unrolled: 1-line block ×3, first 2 shown]
	v_or_b32_e32 v86, 0xc00, v69
	v_lshlrev_b32_e32 v17, 3, v85
	v_or_b32_e32 v87, 0xe00, v69
	v_or_b32_e32 v88, 0x280, v69
	;; [unrolled: 1-line block ×3, first 2 shown]
	v_lshlrev_b32_e32 v18, 3, v86
	v_or_b32_e32 v90, 0x680, v69
	v_lshlrev_b32_e32 v19, 3, v87
	s_waitcnt lgkmcnt(0)
	s_clause 0x1
	s_load_dwordx2 s[12:13], s[0:1], 0x18
	s_load_dwordx4 s[0:3], s[0:1], 0x8
	v_lshlrev_b32_e32 v20, 3, v88
	v_lshlrev_b32_e32 v22, 3, v89
	v_or_b32_e32 v91, 0x880, v69
	v_lshlrev_b32_e32 v24, 3, v90
	v_or_b32_e32 v92, 0xa80, v69
	v_or_b32_e32 v93, 0xc80, v69
	;; [unrolled: 1-line block ×3, first 2 shown]
	v_lshlrev_b32_e32 v26, 3, v91
	v_or_b32_e32 v74, 0x100, v69
	v_lshlrev_b32_e32 v28, 3, v92
	v_lshlrev_b32_e32 v30, 3, v93
	v_lshlrev_b32_e32 v32, 3, v94
	v_or_b32_e32 v95, 0x300, v69
	v_lshlrev_b32_e32 v34, 3, v74
	v_or_b32_e32 v96, 0x500, v69
	v_or_b32_e32 v97, 0x700, v69
	;; [unrolled: 1-line block ×3, first 2 shown]
	v_lshlrev_b32_e32 v36, 3, v95
	s_waitcnt lgkmcnt(0)
	v_mad_u64_u32 v[2:3], null, s12, v1, 0
	v_mul_lo_u32 v9, s3, v72
	v_mul_lo_u32 v12, s2, v73
	;; [unrolled: 1-line block ×4, first 2 shown]
	v_mad_u64_u32 v[6:7], null, s0, v70, 0
	v_mad_u64_u32 v[3:4], null, s13, v1, v[3:4]
	;; [unrolled: 1-line block ×3, first 2 shown]
	v_lshlrev_b32_e32 v38, 3, v96
	v_lshlrev_b32_e32 v40, 3, v97
	v_add3_u32 v7, v7, v14, v13
	v_or_b32_e32 v99, 0xb00, v69
	v_lshlrev_b64 v[2:3], 3, v[2:3]
	v_lshlrev_b32_e32 v41, 3, v98
	v_add3_u32 v5, v5, v12, v9
	v_or_b32_e32 v100, 0xd00, v69
	v_or_b32_e32 v101, 0xf00, v69
	;; [unrolled: 1-line block ×3, first 2 shown]
	v_add_co_u32 v9, s0, s10, v2
	v_lshlrev_b64 v[4:5], 3, v[4:5]
	v_add_co_ci_u32_e64 v12, s0, s11, v3, s0
	v_lshlrev_b64 v[2:3], 3, v[6:7]
	v_or_b32_e32 v102, 0x580, v69
	v_or_b32_e32 v103, 0x980, v69
	v_add_co_u32 v4, s0, v9, v4
	v_add_co_ci_u32_e64 v5, s0, v12, v5, s0
	v_or_b32_e32 v104, 0xd80, v69
	v_add_co_u32 v4, s0, v4, v2
	v_add_co_ci_u32_e64 v5, s0, v5, v3, s0
	;; [unrolled: 3-line block ×3, first 2 shown]
	v_add_co_u32 v6, s0, v4, v10
	v_add_co_ci_u32_e64 v7, s0, 0, v5, s0
	v_add_co_u32 v10, s0, v4, v11
	v_add_co_ci_u32_e64 v11, s0, 0, v5, s0
	;; [unrolled: 2-line block ×17, first 2 shown]
	v_add_co_u32 v43, s0, v4, v40
	v_lshlrev_b32_e32 v40, 3, v99
	v_add_co_ci_u32_e64 v44, s0, 0, v5, s0
	v_add_co_u32 v45, s0, v4, v41
	v_lshlrev_b32_e32 v41, 3, v100
	v_add_co_ci_u32_e64 v46, s0, 0, v5, s0
	;; [unrolled: 3-line block ×11, first 2 shown]
	v_add_co_u32 v122, s0, v4, v41
	v_add_co_ci_u32_e64 v123, s0, 0, v5, s0
	v_add_co_u32 v124, s0, v4, v40
	v_add_co_ci_u32_e64 v125, s0, 0, v5, s0
	s_clause 0x1f
	global_load_dwordx2 v[4:5], v[2:3], off
	global_load_dwordx2 v[67:68], v[12:13], off
	;; [unrolled: 1-line block ×7, first 2 shown]
	global_load_dwordx2 v[13:14], v[8:9], off offset:1024
	global_load_dwordx2 v[63:64], v[18:19], off
	global_load_dwordx2 v[11:12], v[20:21], off
	;; [unrolled: 1-line block ×24, first 2 shown]
.LBB0_8:
	s_or_b32 exec_lo, exec_lo, s14
	s_waitcnt vmcnt(27)
	v_sub_f32_e32 v8, v2, v67
	v_sub_f32_e32 v21, v3, v68
	s_waitcnt vmcnt(26)
	v_sub_f32_e32 v28, v59, v65
	v_sub_f32_e32 v65, v60, v66
	;; [unrolled: 3-line block ×4, first 2 shown]
	v_fma_f32 v2, v2, 2.0, -v8
	v_fma_f32 v3, v3, 2.0, -v21
	;; [unrolled: 1-line block ×8, first 2 shown]
	v_sub_f32_e32 v59, v2, v59
	v_sub_f32_e32 v67, v3, v60
	;; [unrolled: 1-line block ×6, first 2 shown]
	v_add_f32_e32 v68, v8, v65
	v_fma_f32 v65, v2, 2.0, -v59
	v_fma_f32 v66, v3, 2.0, -v67
	v_add_f32_e32 v106, v61, v64
	v_fma_f32 v21, v21, 2.0, -v28
	v_fma_f32 v2, v6, 2.0, -v107
	;; [unrolled: 1-line block ×6, first 2 shown]
	v_sub_f32_e32 v60, v65, v2
	v_sub_f32_e32 v2, v66, v3
	v_fmamk_f32 v3, v6, 0xbf3504f3, v21
	v_add_f32_e32 v64, v59, v5
	v_fmamk_f32 v7, v108, 0x3f3504f3, v28
	v_fma_f32 v62, v65, 2.0, -v60
	v_fmamk_f32 v65, v106, 0x3f3504f3, v68
	v_fmac_f32_e32 v3, 0xbf3504f3, v4
	s_waitcnt vmcnt(18)
	v_sub_f32_e32 v51, v11, v51
	v_sub_f32_e32 v52, v12, v52
	v_fmamk_f32 v61, v4, 0xbf3504f3, v8
	v_fma_f32 v4, v66, 2.0, -v2
	v_fma_f32 v5, v21, 2.0, -v3
	v_sub_f32_e32 v21, v13, v53
	v_sub_f32_e32 v53, v14, v54
	s_waitcnt vmcnt(17)
	v_sub_f32_e32 v54, v15, v55
	v_sub_f32_e32 v55, v16, v56
	s_waitcnt vmcnt(16)
	v_sub_f32_e32 v56, v9, v57
	v_sub_f32_e32 v57, v10, v58
	v_fma_f32 v66, v59, 2.0, -v64
	v_fmac_f32_e32 v65, 0x3f3504f3, v108
	v_fmac_f32_e32 v7, 0xbf3504f3, v106
	v_fma_f32 v13, v13, 2.0, -v21
	v_fma_f32 v14, v14, 2.0, -v53
	;; [unrolled: 1-line block ×8, first 2 shown]
	v_add_f32_e32 v59, v21, v55
	v_sub_f32_e32 v106, v53, v54
	v_sub_f32_e32 v108, v52, v56
	v_fmac_f32_e32 v61, 0x3f3504f3, v6
	v_sub_f32_e32 v6, v67, v107
	v_sub_f32_e32 v58, v13, v15
	;; [unrolled: 1-line block ×3, first 2 shown]
	v_add_f32_e32 v107, v51, v57
	v_fma_f32 v15, v21, 2.0, -v59
	v_sub_f32_e32 v21, v11, v9
	v_sub_f32_e32 v55, v12, v10
	v_fma_f32 v56, v53, 2.0, -v106
	v_fma_f32 v53, v52, 2.0, -v108
	;; [unrolled: 1-line block ×7, first 2 shown]
	v_fmamk_f32 v11, v53, 0xbf3504f3, v56
	s_waitcnt vmcnt(10)
	v_sub_f32_e32 v44, v20, v44
	v_fmamk_f32 v52, v54, 0xbf3504f3, v15
	v_sub_f32_e32 v51, v13, v9
	v_sub_f32_e32 v10, v14, v10
	v_fma_f32 v9, v28, 2.0, -v7
	v_fmac_f32_e32 v11, 0xbf3504f3, v54
	v_sub_f32_e32 v28, v25, v48
	s_waitcnt vmcnt(9)
	v_sub_f32_e32 v48, v42, v50
	s_waitcnt vmcnt(8)
	v_sub_f32_e32 v46, v18, v46
	v_fmac_f32_e32 v52, 0x3f3504f3, v53
	v_fma_f32 v53, v13, 2.0, -v51
	v_fma_f32 v12, v14, 2.0, -v10
	v_sub_f32_e32 v14, v16, v21
	v_fma_f32 v13, v56, 2.0, -v11
	v_fmamk_f32 v56, v107, 0x3f3504f3, v59
	v_sub_f32_e32 v21, v24, v47
	v_sub_f32_e32 v47, v41, v49
	;; [unrolled: 1-line block ×3, first 2 shown]
	v_fma_f32 v25, v25, 2.0, -v28
	v_fma_f32 v42, v42, 2.0, -v48
	v_sub_f32_e32 v45, v17, v45
	v_fma_f32 v20, v20, 2.0, -v44
	v_fma_f32 v18, v18, 2.0, -v46
	;; [unrolled: 1-line block ×3, first 2 shown]
	v_fmamk_f32 v15, v108, 0x3f3504f3, v106
	v_fmac_f32_e32 v56, 0x3f3504f3, v108
	v_fma_f32 v24, v24, 2.0, -v21
	v_fma_f32 v41, v41, 2.0, -v47
	;; [unrolled: 1-line block ×3, first 2 shown]
	v_sub_f32_e32 v50, v25, v42
	v_fma_f32 v17, v17, 2.0, -v45
	v_sub_f32_e32 v108, v44, v45
	v_sub_f32_e32 v45, v20, v18
	v_fma_f32 v63, v8, 2.0, -v61
	v_fma_f32 v8, v67, 2.0, -v6
	v_fma_f32 v67, v68, 2.0, -v65
	v_fmac_f32_e32 v15, 0xbf3504f3, v107
	v_sub_f32_e32 v49, v24, v41
	v_add_f32_e32 v48, v21, v48
	v_fma_f32 v25, v25, 2.0, -v50
	v_sub_f32_e32 v68, v28, v47
	v_add_f32_e32 v107, v43, v46
	v_sub_f32_e32 v46, v19, v17
	v_fma_f32 v18, v20, 2.0, -v45
	v_fma_f32 v24, v24, 2.0, -v49
	;; [unrolled: 1-line block ×7, first 2 shown]
	v_sub_f32_e32 v18, v25, v18
	v_fmamk_f32 v42, v47, 0xbf3504f3, v21
	s_waitcnt vmcnt(3)
	v_sub_f32_e32 v37, v29, v37
	v_sub_f32_e32 v41, v24, v17
	v_fmamk_f32 v19, v43, 0xbf3504f3, v28
	v_fma_f32 v20, v25, 2.0, -v18
	v_fmamk_f32 v25, v108, 0x3f3504f3, v68
	v_sub_f32_e32 v38, v30, v38
	s_waitcnt vmcnt(1)
	v_sub_f32_e32 v39, v31, v39
	v_sub_f32_e32 v40, v32, v40
	;; [unrolled: 1-line block ×4, first 2 shown]
	s_waitcnt vmcnt(0)
	v_sub_f32_e32 v35, v22, v35
	v_sub_f32_e32 v36, v23, v36
	v_add_f32_e32 v55, v58, v55
	v_fmac_f32_e32 v42, 0x3f3504f3, v43
	v_fma_f32 v43, v24, 2.0, -v41
	v_fmac_f32_e32 v19, 0xbf3504f3, v47
	v_add_f32_e32 v45, v49, v45
	v_sub_f32_e32 v24, v50, v46
	v_fmamk_f32 v46, v107, 0x3f3504f3, v48
	v_fmac_f32_e32 v25, 0xbf3504f3, v107
	v_fma_f32 v29, v29, 2.0, -v37
	v_fma_f32 v30, v30, 2.0, -v38
	;; [unrolled: 1-line block ×8, first 2 shown]
	v_add_f32_e32 v40, v37, v40
	v_add_f32_e32 v107, v33, v36
	v_fma_f32 v57, v58, 2.0, -v55
	v_fma_f32 v58, v59, 2.0, -v56
	;; [unrolled: 1-line block ×6, first 2 shown]
	v_fmac_f32_e32 v46, 0x3f3504f3, v108
	v_sub_f32_e32 v49, v29, v31
	v_sub_f32_e32 v50, v30, v32
	;; [unrolled: 1-line block ×3, first 2 shown]
	v_fma_f32 v36, v37, 2.0, -v40
	v_sub_f32_e32 v37, v34, v35
	v_sub_f32_e32 v108, v26, v22
	;; [unrolled: 1-line block ×3, first 2 shown]
	v_fma_f32 v35, v33, 2.0, -v107
	v_fma_f32 v31, v29, 2.0, -v49
	;; [unrolled: 1-line block ×7, first 2 shown]
	v_fmamk_f32 v23, v35, 0xbf3504f3, v36
	v_fma_f32 v17, v106, 2.0, -v15
	v_fmamk_f32 v33, v29, 0xbf3504f3, v38
	v_sub_f32_e32 v22, v31, v22
	v_sub_f32_e32 v32, v30, v26
	v_fmac_f32_e32 v23, 0x3f3504f3, v29
	v_fma_f32 v29, v68, 2.0, -v25
	v_lshlrev_b32_e32 v68, 14, v105
	v_fmac_f32_e32 v33, 0xbf3504f3, v35
	v_fma_f32 v34, v30, 2.0, -v32
	v_add_f32_e32 v30, v49, v59
	v_fma_f32 v26, v31, 2.0, -v22
	v_add_nc_u32_e32 v59, 0, v68
	v_fmamk_f32 v31, v107, 0x3f3504f3, v40
	v_fma_f32 v35, v38, 2.0, -v33
	v_fmamk_f32 v106, v37, 0x3f3504f3, v39
	v_lshlrev_b32_e32 v38, 2, v69
	v_lshl_add_u32 v113, v69, 5, v59
	v_lshl_add_u32 v114, v76, 5, v59
	s_clause 0x1
	s_load_dwordx2 s[10:11], s[8:9], 0x8
	s_load_dwordx4 s[0:3], s[8:9], 0x10
	v_fma_f32 v48, v48, 2.0, -v46
	v_fmac_f32_e32 v31, 0x3f3504f3, v37
	ds_write2_b64 v113, v[62:63], v[66:67] offset1:1
	v_lshl_add_u32 v66, v74, 5, v59
	ds_write2_b64 v113, v[60:61], v[64:65] offset0:2 offset1:3
	ds_write2_b64 v114, v[53:54], v[57:58] offset1:1
	v_lshl_add_u32 v65, v75, 5, v59
	v_sub_f32_e32 v105, v50, v108
	v_fmac_f32_e32 v106, 0xbf3504f3, v107
	ds_write2_b64 v114, v[51:52], v[55:56] offset0:2 offset1:3
	ds_write2_b64 v66, v[43:44], v[47:48] offset1:1
	v_add3_u32 v56, 0, v38, v68
	v_and_b32_e32 v60, 7, v0
	v_fma_f32 v27, v36, 2.0, -v23
	v_fma_f32 v36, v49, 2.0, -v30
	;; [unrolled: 1-line block ×3, first 2 shown]
	v_add_nc_u32_e32 v55, v59, v38
	v_fma_f32 v16, v16, 2.0, -v14
	v_mad_i32_i24 v54, 0xffffffe4, v74, v66
	v_lshl_add_u32 v57, v76, 2, v59
	v_mad_i32_i24 v58, 0xffffffe4, v75, v65
	v_fma_f32 v107, v50, 2.0, -v105
	v_fma_f32 v108, v39, 2.0, -v106
	ds_write2_b64 v66, v[41:42], v[45:46] offset0:2 offset1:3
	ds_write2_b64 v65, v[26:27], v[36:37] offset1:1
	ds_write2_b64 v65, v[22:23], v[30:31] offset0:2 offset1:3
	s_waitcnt lgkmcnt(0)
	s_barrier
	buffer_gl0_inv
	ds_read2st64_b32 v[22:23], v56 offset0:8 offset1:10
	ds_read2st64_b32 v[109:110], v56 offset0:12 offset1:14
	;; [unrolled: 1-line block ×14, first 2 shown]
	ds_read_b32 v62, v55
	ds_read_b32 v64, v54
	ds_read_b32 v61, v57
	ds_read_b32 v63, v58
	s_waitcnt lgkmcnt(0)
	s_barrier
	buffer_gl0_inv
	ds_write2_b64 v113, v[4:5], v[8:9] offset1:1
	ds_write2_b64 v113, v[2:3], v[6:7] offset0:2 offset1:3
	ds_write2_b64 v114, v[12:13], v[16:17] offset1:1
	v_mul_u32_u24_e32 v2, 15, v60
	ds_write2_b64 v114, v[10:11], v[14:15] offset0:2 offset1:3
	ds_write2_b64 v66, v[20:21], v[28:29] offset1:1
	ds_write2_b64 v66, v[18:19], v[24:25] offset0:2 offset1:3
	ds_write2_b64 v65, v[34:35], v[107:108] offset1:1
	ds_write2_b64 v65, v[32:33], v[105:106] offset0:2 offset1:3
	s_waitcnt lgkmcnt(0)
	s_barrier
	v_lshlrev_b32_e32 v24, 3, v2
	buffer_gl0_inv
	s_clause 0x7
	global_load_dwordx4 v[2:5], v24, s[6:7] offset:16
	global_load_dwordx4 v[6:9], v24, s[6:7] offset:32
	;; [unrolled: 1-line block ×6, first 2 shown]
	global_load_dwordx4 v[65:68], v24, s[6:7]
	global_load_dwordx2 v[28:29], v24, s[6:7] offset:112
	ds_read2st64_b32 v[105:106], v56 offset0:12 offset1:14
	ds_read2st64_b32 v[107:108], v56 offset0:16 offset1:18
	;; [unrolled: 1-line block ×9, first 2 shown]
	v_lshlrev_b32_e32 v0, 4, v0
	v_lshl_add_u32 v79, v79, 2, v59
	v_lshl_add_u32 v84, v84, 2, v59
	;; [unrolled: 1-line block ×4, first 2 shown]
	v_and_or_b32 v0, 0x780, v0, v60
	v_lshl_add_u32 v85, v85, 2, v59
	v_lshl_add_u32 v93, v93, 2, v59
	;; [unrolled: 1-line block ×6, first 2 shown]
	s_waitcnt vmcnt(7) lgkmcnt(8)
	v_mul_f32_e32 v127, v105, v3
	v_mul_f32_e32 v24, v106, v3
	;; [unrolled: 1-line block ×4, first 2 shown]
	s_waitcnt vmcnt(6) lgkmcnt(5)
	v_mul_f32_e32 v128, v116, v9
	v_fmac_f32_e32 v127, v109, v2
	v_fmac_f32_e32 v24, v110, v2
	v_mul_f32_e32 v109, v107, v5
	v_mul_f32_e32 v110, v108, v5
	v_fma_f32 v105, v105, v2, -v25
	v_fma_f32 v25, v106, v2, -v3
	v_mul_f32_e32 v106, v111, v5
	v_mul_f32_e32 v5, v112, v5
	v_fmac_f32_e32 v109, v111, v4
	v_fmac_f32_e32 v110, v112, v4
	v_mul_f32_e32 v111, v114, v7
	v_fma_f32 v106, v107, v4, -v106
	v_fma_f32 v107, v108, v4, -v5
	v_mul_f32_e32 v108, v113, v7
	v_mul_f32_e32 v112, v52, v7
	;; [unrolled: 1-line block ×3, first 2 shown]
	v_fmac_f32_e32 v111, v53, v6
	ds_read2st64_b32 v[2:3], v56 offset0:48 offset1:50
	v_fmac_f32_e32 v108, v52, v6
	v_mul_f32_e32 v52, v115, v9
	v_fma_f32 v53, v113, v6, -v112
	v_mul_f32_e32 v113, v50, v9
	v_mul_f32_e32 v9, v51, v9
	ds_read2st64_b32 v[4:5], v56 offset0:52 offset1:54
	v_fma_f32 v112, v114, v6, -v7
	v_fmac_f32_e32 v52, v50, v8
	v_fmac_f32_e32 v128, v51, v8
	v_fma_f32 v50, v115, v8, -v113
	v_fma_f32 v113, v116, v8, -v9
	s_waitcnt vmcnt(5) lgkmcnt(6)
	v_mul_f32_e32 v51, v117, v11
	v_mul_f32_e32 v114, v118, v11
	;; [unrolled: 1-line block ×4, first 2 shown]
	ds_read2st64_b32 v[6:7], v56 offset0:56 offset1:58
	s_waitcnt lgkmcnt(6)
	v_mul_f32_e32 v11, v119, v13
	v_mul_f32_e32 v115, v120, v13
	v_fmac_f32_e32 v51, v48, v10
	v_fmac_f32_e32 v114, v49, v10
	v_mul_f32_e32 v48, v46, v13
	v_mul_f32_e32 v13, v47, v13
	v_fma_f32 v49, v117, v10, -v8
	v_fma_f32 v116, v118, v10, -v9
	s_waitcnt vmcnt(4) lgkmcnt(5)
	v_mul_f32_e32 v10, v121, v15
	v_mul_f32_e32 v117, v122, v15
	;; [unrolled: 1-line block ×4, first 2 shown]
	v_fmac_f32_e32 v11, v46, v12
	v_fmac_f32_e32 v115, v47, v12
	v_fma_f32 v15, v119, v12, -v48
	v_fma_f32 v118, v120, v12, -v13
	s_waitcnt lgkmcnt(4)
	v_mul_f32_e32 v12, v123, v17
	v_mul_f32_e32 v119, v124, v17
	;; [unrolled: 1-line block ×4, first 2 shown]
	s_waitcnt vmcnt(3) lgkmcnt(3)
	v_mul_f32_e32 v46, v125, v19
	v_mul_f32_e32 v120, v126, v19
	v_fmac_f32_e32 v10, v44, v14
	v_fmac_f32_e32 v117, v45, v14
	v_mul_f32_e32 v44, v40, v19
	v_mul_f32_e32 v19, v41, v19
	v_fma_f32 v45, v121, v14, -v8
	v_fma_f32 v121, v122, v14, -v9
	ds_read2st64_b32 v[8:9], v56 offset0:8 offset1:10
	v_fmac_f32_e32 v12, v42, v16
	v_fmac_f32_e32 v119, v43, v16
	v_fma_f32 v13, v123, v16, -v13
	v_fma_f32 v42, v124, v16, -v17
	v_fmac_f32_e32 v46, v40, v18
	v_fmac_f32_e32 v120, v41, v18
	v_fma_f32 v16, v125, v18, -v44
	v_fma_f32 v40, v126, v18, -v19
	v_mul_f32_e32 v17, v38, v21
	v_mul_f32_e32 v18, v39, v21
	s_waitcnt lgkmcnt(3)
	v_mul_f32_e32 v14, v2, v21
	v_mul_f32_e32 v41, v3, v21
	s_waitcnt vmcnt(2) lgkmcnt(2)
	v_mul_f32_e32 v19, v4, v33
	v_fma_f32 v17, v2, v20, -v17
	v_mul_f32_e32 v43, v5, v33
	v_fma_f32 v44, v3, v20, -v18
	v_mul_f32_e32 v2, v36, v33
	v_mul_f32_e32 v3, v37, v33
	v_fmac_f32_e32 v14, v38, v20
	v_fmac_f32_e32 v41, v39, v20
	;; [unrolled: 1-line block ×4, first 2 shown]
	s_waitcnt lgkmcnt(1)
	v_mul_f32_e32 v18, v6, v35
	ds_read_b32 v20, v54
	v_fma_f32 v4, v4, v32, -v2
	v_fma_f32 v32, v5, v32, -v3
	ds_read_b32 v5, v58
	v_mul_f32_e32 v33, v7, v35
	v_fmac_f32_e32 v18, v30, v34
	v_mul_f32_e32 v21, v30, v35
	v_mul_f32_e32 v30, v31, v35
	s_waitcnt vmcnt(1) lgkmcnt(2)
	v_mul_f32_e32 v35, v8, v68
	ds_read2st64_b32 v[2:3], v56 offset0:60 offset1:62
	v_fmac_f32_e32 v33, v31, v34
	v_mul_f32_e32 v31, v9, v68
	v_fma_f32 v6, v6, v34, -v21
	v_fma_f32 v30, v7, v34, -v30
	v_fmac_f32_e32 v35, v22, v67
	v_mul_f32_e32 v7, v22, v68
	v_fmac_f32_e32 v31, v23, v67
	v_mul_f32_e32 v21, v23, v68
	ds_read_b32 v22, v57
	ds_read_b32 v23, v55
	v_sub_f32_e32 v12, v35, v12
	s_waitcnt lgkmcnt(4)
	v_mul_f32_e32 v34, v20, v66
	v_fma_f32 v7, v8, v67, -v7
	v_mul_f32_e32 v8, v64, v66
	s_waitcnt lgkmcnt(3)
	v_mul_f32_e32 v122, v5, v66
	v_fma_f32 v123, v9, v67, -v21
	v_mul_f32_e32 v9, v63, v66
	v_fmac_f32_e32 v34, v64, v65
	v_fma_f32 v8, v20, v65, -v8
	v_fmac_f32_e32 v122, v63, v65
	s_waitcnt vmcnt(0) lgkmcnt(2)
	v_mul_f32_e32 v20, v2, v29
	v_fma_f32 v65, v5, v65, -v9
	v_mul_f32_e32 v5, v26, v29
	v_mul_f32_e32 v9, v27, v29
	;; [unrolled: 1-line block ×3, first 2 shown]
	v_fmac_f32_e32 v20, v26, v28
	v_sub_f32_e32 v13, v7, v13
	v_fma_f32 v2, v2, v28, -v5
	v_fma_f32 v26, v3, v28, -v9
	s_waitcnt lgkmcnt(0)
	v_sub_f32_e32 v3, v23, v15
	v_sub_f32_e32 v5, v109, v14
	;; [unrolled: 1-line block ×4, first 2 shown]
	v_fma_f32 v7, v7, 2.0, -v13
	v_fma_f32 v15, v23, 2.0, -v3
	;; [unrolled: 1-line block ×4, first 2 shown]
	v_sub_f32_e32 v10, v34, v10
	v_fma_f32 v29, v50, 2.0, -v6
	v_sub_f32_e32 v19, v108, v19
	v_sub_f32_e32 v35, v127, v46
	;; [unrolled: 1-line block ×3, first 2 shown]
	v_fmac_f32_e32 v63, v27, v28
	v_sub_f32_e32 v11, v62, v11
	v_sub_f32_e32 v18, v52, v18
	;; [unrolled: 1-line block ×3, first 2 shown]
	v_fma_f32 v34, v34, 2.0, -v10
	v_sub_f32_e32 v4, v53, v4
	v_fma_f32 v36, v108, 2.0, -v19
	v_sub_f32_e32 v16, v105, v16
	;; [unrolled: 2-line block ×4, first 2 shown]
	v_sub_f32_e32 v29, v7, v29
	v_fma_f32 v9, v62, 2.0, -v11
	v_fma_f32 v17, v109, 2.0, -v5
	;; [unrolled: 1-line block ×7, first 2 shown]
	v_sub_f32_e32 v5, v3, v5
	v_fma_f32 v15, v15, 2.0, -v21
	v_sub_f32_e32 v18, v13, v18
	v_sub_f32_e32 v36, v34, v36
	v_fma_f32 v7, v7, 2.0, -v29
	v_sub_f32_e32 v19, v27, v19
	v_sub_f32_e32 v45, v38, v45
	;; [unrolled: 1-line block ×4, first 2 shown]
	v_add_f32_e32 v14, v11, v14
	v_sub_f32_e32 v28, v23, v28
	v_fma_f32 v3, v3, 2.0, -v5
	v_add_f32_e32 v6, v12, v6
	v_sub_f32_e32 v37, v8, v37
	v_fma_f32 v13, v13, 2.0, -v18
	v_fma_f32 v34, v34, 2.0, -v36
	v_add_f32_e32 v4, v10, v4
	v_sub_f32_e32 v46, v39, v46
	v_fma_f32 v27, v27, 2.0, -v19
	v_add_f32_e32 v2, v35, v2
	v_fma_f32 v38, v38, 2.0, -v45
	v_sub_f32_e32 v50, v15, v7
	v_fma_f32 v7, v16, 2.0, -v20
	v_fma_f32 v9, v9, 2.0, -v17
	v_fma_f32 v11, v11, 2.0, -v14
	v_fma_f32 v23, v23, 2.0, -v28
	v_fma_f32 v12, v12, 2.0, -v6
	v_fma_f32 v8, v8, 2.0, -v37
	v_fma_f32 v10, v10, 2.0, -v4
	v_fma_f32 v39, v39, 2.0, -v46
	v_fma_f32 v35, v35, 2.0, -v2
	v_fmamk_f32 v52, v13, 0xbf3504f3, v3
	v_add_f32_e32 v16, v17, v29
	v_fmamk_f32 v29, v18, 0x3f3504f3, v5
	v_sub_f32_e32 v47, v34, v38
	v_fmamk_f32 v53, v7, 0xbf3504f3, v27
	v_fmamk_f32 v49, v12, 0xbf3504f3, v11
	v_sub_f32_e32 v23, v9, v23
	v_fmac_f32_e32 v52, 0xbf3504f3, v12
	v_fmamk_f32 v62, v6, 0x3f3504f3, v14
	v_fma_f32 v12, v17, 2.0, -v16
	v_fmac_f32_e32 v29, 0xbf3504f3, v6
	v_fmamk_f32 v17, v35, 0xbf3504f3, v10
	v_sub_f32_e32 v51, v8, v39
	v_fma_f32 v6, v34, 2.0, -v47
	v_fmac_f32_e32 v53, 0xbf3504f3, v35
	v_fmamk_f32 v34, v2, 0x3f3504f3, v4
	v_add_f32_e32 v35, v36, v46
	v_fmac_f32_e32 v49, 0x3f3504f3, v13
	v_fma_f32 v9, v9, 2.0, -v23
	v_fma_f32 v13, v15, 2.0, -v50
	v_sub_f32_e32 v28, v21, v28
	v_fma_f32 v3, v3, 2.0, -v52
	v_fmac_f32_e32 v62, 0x3f3504f3, v18
	v_fmac_f32_e32 v17, 0x3f3504f3, v7
	v_fma_f32 v7, v8, 2.0, -v51
	v_sub_f32_e32 v45, v37, v45
	v_fmamk_f32 v64, v20, 0x3f3504f3, v19
	v_fma_f32 v8, v27, 2.0, -v53
	v_fmac_f32_e32 v34, 0x3f3504f3, v20
	v_fma_f32 v20, v36, 2.0, -v35
	v_fma_f32 v11, v11, 2.0, -v49
	;; [unrolled: 1-line block ×6, first 2 shown]
	v_fmac_f32_e32 v64, 0xbf3504f3, v2
	v_sub_f32_e32 v36, v9, v6
	v_fma_f32 v2, v4, 2.0, -v34
	v_sub_f32_e32 v6, v13, v7
	v_fmamk_f32 v7, v8, 0xbf6c835e, v3
	v_fmamk_f32 v38, v20, 0xbf3504f3, v12
	v_fma_f32 v5, v5, 2.0, -v29
	v_fmamk_f32 v37, v10, 0xbf6c835e, v11
	v_fma_f32 v4, v19, 2.0, -v64
	v_fmac_f32_e32 v7, 0xbec3ef15, v10
	v_fmamk_f32 v39, v2, 0xbec3ef15, v14
	v_fmac_f32_e32 v38, 0x3f3504f3, v21
	v_fma_f32 v67, v9, 2.0, -v36
	v_fmac_f32_e32 v37, 0x3ec3ef15, v8
	v_fmamk_f32 v8, v21, 0xbf3504f3, v15
	v_fmamk_f32 v9, v4, 0xbec3ef15, v5
	v_fmac_f32_e32 v39, 0x3f6c835e, v4
	v_fma_f32 v21, v3, 2.0, -v7
	v_fma_f32 v46, v12, 2.0, -v38
	v_fmamk_f32 v3, v35, 0x3f3504f3, v16
	v_fmamk_f32 v12, v45, 0x3f3504f3, v28
	v_fma_f32 v68, v11, 2.0, -v37
	v_fmac_f32_e32 v9, 0xbf6c835e, v2
	v_fma_f32 v48, v14, 2.0, -v39
	v_add_f32_e32 v2, v23, v51
	v_fmamk_f32 v4, v17, 0x3ec3ef15, v49
	v_fmamk_f32 v11, v53, 0x3ec3ef15, v52
	v_fmamk_f32 v14, v64, 0x3f6c835e, v29
	v_fmac_f32_e32 v3, 0x3f3504f3, v45
	v_fmac_f32_e32 v12, 0xbf3504f3, v35
	;; [unrolled: 1-line block ×3, first 2 shown]
	v_sub_f32_e32 v10, v50, v47
	v_fma_f32 v47, v23, 2.0, -v2
	v_fmac_f32_e32 v4, 0x3f6c835e, v53
	v_fmac_f32_e32 v11, 0xbf6c835e, v17
	;; [unrolled: 1-line block ×3, first 2 shown]
	v_fma_f32 v53, v16, 2.0, -v3
	v_fma_f32 v16, v28, 2.0, -v12
	v_sub_f32_e32 v23, v61, v115
	v_sub_f32_e32 v28, v110, v41
	;; [unrolled: 1-line block ×4, first 2 shown]
	v_fma_f32 v19, v15, 2.0, -v8
	v_fma_f32 v20, v5, 2.0, -v9
	;; [unrolled: 1-line block ×3, first 2 shown]
	v_fmamk_f32 v5, v34, 0x3f6c835e, v62
	v_fma_f32 v15, v52, 2.0, -v11
	v_fma_f32 v17, v29, 2.0, -v14
	v_sub_f32_e32 v27, v22, v118
	v_fma_f32 v29, v61, 2.0, -v23
	v_sub_f32_e32 v34, v107, v44
	v_fma_f32 v41, v110, 2.0, -v28
	v_fma_f32 v31, v31, 2.0, -v35
	v_sub_f32_e32 v30, v113, v30
	v_sub_f32_e32 v49, v122, v117
	v_fma_f32 v52, v128, 2.0, -v33
	v_sub_f32_e32 v32, v112, v32
	v_sub_f32_e32 v66, v24, v120
	;; [unrolled: 1-line block ×3, first 2 shown]
	v_fma_f32 v18, v13, 2.0, -v6
	v_fma_f32 v13, v50, 2.0, -v10
	v_fmac_f32_e32 v5, 0x3ec3ef15, v64
	v_fma_f32 v22, v22, 2.0, -v27
	v_sub_f32_e32 v42, v123, v42
	v_fma_f32 v44, v107, 2.0, -v34
	v_sub_f32_e32 v50, v65, v121
	;; [unrolled: 2-line block ×3, first 2 shown]
	v_sub_f32_e32 v40, v25, v40
	v_sub_f32_e32 v63, v114, v63
	v_fma_f32 v106, v112, 2.0, -v32
	v_sub_f32_e32 v41, v29, v41
	v_fma_f32 v108, v116, 2.0, -v26
	v_add_f32_e32 v34, v23, v34
	v_sub_f32_e32 v52, v31, v52
	v_add_f32_e32 v30, v35, v30
	v_add_f32_e32 v32, v49, v32
	;; [unrolled: 1-line block ×3, first 2 shown]
	v_fma_f32 v64, v62, 2.0, -v5
	v_fma_f32 v45, v123, 2.0, -v42
	v_fma_f32 v62, v122, 2.0, -v49
	v_fma_f32 v65, v65, 2.0, -v50
	v_fma_f32 v105, v111, 2.0, -v43
	v_fma_f32 v24, v24, 2.0, -v66
	v_fma_f32 v25, v25, 2.0, -v40
	v_fma_f32 v107, v114, 2.0, -v63
	v_sub_f32_e32 v44, v22, v44
	v_sub_f32_e32 v28, v27, v28
	v_fma_f32 v29, v29, 2.0, -v41
	v_fma_f32 v23, v23, 2.0, -v34
	;; [unrolled: 1-line block ×3, first 2 shown]
	v_sub_f32_e32 v33, v42, v33
	v_fma_f32 v35, v35, 2.0, -v30
	v_sub_f32_e32 v43, v50, v43
	v_fma_f32 v49, v49, 2.0, -v32
	;; [unrolled: 2-line block ×3, first 2 shown]
	v_fma_f32 v27, v27, 2.0, -v28
	v_sub_f32_e32 v61, v45, v61
	v_sub_f32_e32 v105, v62, v105
	;; [unrolled: 1-line block ×3, first 2 shown]
	v_fma_f32 v42, v42, 2.0, -v33
	v_sub_f32_e32 v107, v24, v107
	v_sub_f32_e32 v108, v25, v108
	v_fma_f32 v50, v50, 2.0, -v43
	v_fmamk_f32 v109, v35, 0xbf3504f3, v23
	v_sub_f32_e32 v110, v29, v31
	v_fma_f32 v31, v40, 2.0, -v63
	v_sub_f32_e32 v115, v44, v52
	v_fmamk_f32 v52, v66, 0xbf3504f3, v49
	v_fma_f32 v22, v22, 2.0, -v44
	v_fma_f32 v45, v45, 2.0, -v61
	;; [unrolled: 1-line block ×6, first 2 shown]
	v_fmamk_f32 v112, v42, 0xbf3504f3, v27
	v_fmac_f32_e32 v109, 0x3f3504f3, v42
	v_fmamk_f32 v117, v31, 0xbf3504f3, v50
	v_fmac_f32_e32 v52, 0x3f3504f3, v31
	v_sub_f32_e32 v111, v22, v45
	v_fmac_f32_e32 v112, 0xbf3504f3, v35
	v_fma_f32 v35, v23, 2.0, -v109
	v_fmamk_f32 v113, v30, 0x3f3504f3, v34
	v_add_f32_e32 v114, v41, v61
	v_sub_f32_e32 v61, v62, v24
	v_sub_f32_e32 v45, v65, v25
	v_fmac_f32_e32 v117, 0xbf3504f3, v66
	v_fma_f32 v25, v49, 2.0, -v52
	v_fmamk_f32 v118, v26, 0x3f3504f3, v32
	v_sub_f32_e32 v107, v106, v107
	v_fma_f32 v29, v29, 2.0, -v110
	v_fma_f32 v42, v22, 2.0, -v111
	v_fmamk_f32 v116, v33, 0x3f3504f3, v28
	v_fma_f32 v27, v27, 2.0, -v112
	v_fmac_f32_e32 v113, 0x3f3504f3, v33
	v_fma_f32 v33, v41, 2.0, -v114
	v_fma_f32 v44, v44, 2.0, -v115
	;; [unrolled: 1-line block ×4, first 2 shown]
	v_add_f32_e32 v108, v105, v108
	v_fmamk_f32 v119, v63, 0x3f3504f3, v43
	v_fma_f32 v24, v50, 2.0, -v117
	v_fmac_f32_e32 v118, 0x3f3504f3, v63
	v_fma_f32 v49, v106, 2.0, -v107
	v_fmamk_f32 v41, v25, 0xbf6c835e, v35
	v_fmac_f32_e32 v116, 0xbf3504f3, v30
	v_fma_f32 v34, v34, 2.0, -v113
	v_fma_f32 v31, v105, 2.0, -v108
	v_fmac_f32_e32 v119, 0xbf3504f3, v26
	v_sub_f32_e32 v40, v29, v22
	v_fma_f32 v26, v32, 2.0, -v118
	v_sub_f32_e32 v22, v42, v23
	v_fmamk_f32 v23, v24, 0xbf6c835e, v27
	v_fmac_f32_e32 v41, 0x3ec3ef15, v24
	v_fmamk_f32 v24, v49, 0xbf3504f3, v44
	v_fma_f32 v28, v28, 2.0, -v116
	v_fma_f32 v32, v43, 2.0, -v119
	v_fmamk_f32 v43, v26, 0xbec3ef15, v34
	v_fmac_f32_e32 v23, 0xbec3ef15, v25
	v_fmac_f32_e32 v24, 0xbf3504f3, v31
	v_fma_f32 v30, v42, 2.0, -v22
	v_fmamk_f32 v25, v32, 0xbec3ef15, v28
	v_fmac_f32_e32 v43, 0x3f6c835e, v32
	v_fmamk_f32 v42, v31, 0xbf3504f3, v33
	v_fma_f32 v32, v44, 2.0, -v24
	v_fmamk_f32 v44, v52, 0x3ec3ef15, v109
	v_fmac_f32_e32 v25, 0xbf6c835e, v26
	v_fmamk_f32 v26, v117, 0x3ec3ef15, v112
	v_fmac_f32_e32 v42, 0x3f3504f3, v49
	v_fma_f32 v31, v27, 2.0, -v23
	v_fmac_f32_e32 v44, 0x3f6c835e, v117
	v_sub_f32_e32 v27, v111, v61
	v_fmac_f32_e32 v26, 0xbf6c835e, v52
	v_fmamk_f32 v49, v108, 0x3f3504f3, v114
	v_fmamk_f32 v52, v118, 0x3f6c835e, v113
	v_fma_f32 v61, v109, 2.0, -v44
	v_lshlrev_b32_e32 v109, 4, v76
	v_add_f32_e32 v45, v110, v45
	v_fmac_f32_e32 v49, 0x3f3504f3, v107
	v_fmac_f32_e32 v52, 0x3ec3ef15, v119
	v_fma_f32 v62, v29, 2.0, -v40
	v_and_or_b32 v60, 0xf80, v109, v60
	v_fma_f32 v63, v33, 2.0, -v42
	v_fma_f32 v33, v28, 2.0, -v25
	v_fmamk_f32 v28, v107, 0x3f3504f3, v115
	v_fmamk_f32 v29, v119, 0x3f6c835e, v116
	v_fma_f32 v66, v35, 2.0, -v41
	v_fma_f32 v65, v34, 2.0, -v43
	;; [unrolled: 1-line block ×5, first 2 shown]
	s_barrier
	buffer_gl0_inv
	ds_write2_b32 v0, v67, v68 offset1:8
	ds_write2_b32 v0, v46, v48 offset0:16 offset1:24
	ds_write2_b32 v0, v47, v51 offset0:32 offset1:40
	;; [unrolled: 1-line block ×3, first 2 shown]
	v_lshl_add_u32 v67, v60, 2, v59
	v_fma_f32 v34, v111, 2.0, -v27
	v_fma_f32 v35, v112, 2.0, -v26
	v_fmac_f32_e32 v28, 0xbf3504f3, v108
	v_fmac_f32_e32 v29, 0xbec3ef15, v118
	ds_write2_b32 v0, v36, v37 offset0:64 offset1:72
	ds_write2_b32 v0, v38, v39 offset0:80 offset1:88
	;; [unrolled: 1-line block ×4, first 2 shown]
	ds_write2_b32 v67, v62, v66 offset1:8
	ds_write2_b32 v67, v63, v65 offset0:16 offset1:24
	ds_write2_b32 v67, v50, v61 offset0:32 offset1:40
	;; [unrolled: 1-line block ×7, first 2 shown]
	s_waitcnt lgkmcnt(0)
	s_barrier
	buffer_gl0_inv
	ds_read_b32 v66, v55
	ds_read2st64_b32 v[36:37], v56 offset0:16 offset1:18
	ds_read2st64_b32 v[38:39], v56 offset0:32 offset1:34
	;; [unrolled: 1-line block ×3, first 2 shown]
	ds_read_b32 v68, v58
	ds_read_b32 v105, v57
	;; [unrolled: 1-line block ×3, first 2 shown]
	ds_read2st64_b32 v[42:43], v56 offset0:20 offset1:22
	ds_read2st64_b32 v[44:45], v56 offset0:36 offset1:38
	;; [unrolled: 1-line block ×11, first 2 shown]
	s_waitcnt lgkmcnt(0)
	s_barrier
	buffer_gl0_inv
	ds_write2_b32 v0, v18, v21 offset1:8
	ds_write2_b32 v0, v19, v20 offset0:16 offset1:24
	ds_write2_b32 v0, v13, v15 offset0:32 offset1:40
	;; [unrolled: 1-line block ×7, first 2 shown]
	ds_write2_b32 v67, v30, v31 offset1:8
	ds_write2_b32 v67, v32, v33 offset0:16 offset1:24
	ds_write2_b32 v67, v34, v35 offset0:32 offset1:40
	v_mul_u32_u24_e32 v0, 3, v69
	v_fma_f32 v106, v115, 2.0, -v28
	v_fma_f32 v108, v116, 2.0, -v29
	ds_write2_b32 v67, v106, v108 offset0:48 offset1:56
	ds_write2_b32 v67, v22, v23 offset0:64 offset1:72
	;; [unrolled: 1-line block ×4, first 2 shown]
	v_lshlrev_b32_e32 v0, 3, v0
	ds_write2_b32 v67, v28, v29 offset0:112 offset1:120
	s_waitcnt lgkmcnt(0)
	s_barrier
	buffer_gl0_inv
	s_clause 0x1
	global_load_dwordx4 v[6:9], v0, s[6:7] offset:960
	global_load_dwordx2 v[10:11], v0, s[6:7] offset:976
	ds_read2st64_b32 v[12:13], v56 offset0:16 offset1:18
	ds_read2st64_b32 v[14:15], v56 offset0:32 offset1:34
	ds_read_b32 v0, v55
	ds_read2st64_b32 v[16:17], v56 offset0:48 offset1:50
	ds_read_b32 v34, v58
	ds_read_b32 v67, v57
	;; [unrolled: 1-line block ×3, first 2 shown]
	ds_read2st64_b32 v[18:19], v56 offset0:20 offset1:22
	ds_read2st64_b32 v[20:21], v56 offset0:36 offset1:38
	;; [unrolled: 1-line block ×8, first 2 shown]
	s_waitcnt vmcnt(1)
	v_mul_f32_e32 v108, v36, v7
	s_waitcnt lgkmcnt(14)
	v_mul_f32_e32 v35, v12, v7
	s_waitcnt lgkmcnt(13)
	v_mul_f32_e32 v109, v14, v9
	v_mul_f32_e32 v110, v13, v7
	s_waitcnt vmcnt(0)
	v_mul_f32_e32 v112, v53, v11
	v_fma_f32 v108, v12, v6, -v108
	v_mul_f32_e32 v12, v37, v7
	v_fmac_f32_e32 v35, v36, v6
	v_mul_f32_e32 v36, v38, v9
	v_fmac_f32_e32 v109, v38, v8
	s_waitcnt lgkmcnt(11)
	v_mul_f32_e32 v38, v17, v11
	v_fma_f32 v111, v13, v6, -v12
	v_mul_f32_e32 v12, v40, v11
	v_fma_f32 v14, v14, v8, -v36
	v_mul_f32_e32 v36, v16, v11
	v_mul_f32_e32 v13, v39, v9
	v_fmac_f32_e32 v110, v37, v6
	v_fma_f32 v16, v16, v10, -v12
	v_mul_f32_e32 v12, v41, v11
	v_mul_f32_e32 v37, v15, v9
	v_fmac_f32_e32 v36, v40, v10
	v_fma_f32 v15, v15, v8, -v13
	s_waitcnt lgkmcnt(7)
	v_mul_f32_e32 v40, v18, v7
	v_fmac_f32_e32 v38, v41, v10
	v_mul_f32_e32 v13, v42, v7
	v_fma_f32 v17, v17, v10, -v12
	v_mul_f32_e32 v41, v19, v7
	v_mul_f32_e32 v12, v43, v7
	v_fmac_f32_e32 v37, v39, v8
	s_waitcnt lgkmcnt(6)
	v_mul_f32_e32 v39, v20, v9
	v_fmac_f32_e32 v40, v42, v6
	v_fma_f32 v18, v18, v6, -v13
	v_mul_f32_e32 v13, v44, v9
	v_fmac_f32_e32 v41, v43, v6
	s_waitcnt lgkmcnt(5)
	v_mul_f32_e32 v42, v22, v11
	v_mul_f32_e32 v43, v46, v11
	v_fma_f32 v19, v19, v6, -v12
	v_mul_f32_e32 v12, v45, v9
	v_fmac_f32_e32 v39, v44, v8
	v_mul_f32_e32 v44, v21, v9
	v_fma_f32 v20, v20, v8, -v13
	v_fmac_f32_e32 v42, v46, v10
	v_fma_f32 v22, v22, v10, -v43
	v_mul_f32_e32 v43, v23, v11
	v_mul_f32_e32 v13, v47, v11
	v_fma_f32 v21, v21, v8, -v12
	v_mul_f32_e32 v12, v48, v7
	s_waitcnt lgkmcnt(4)
	v_mul_f32_e32 v46, v25, v7
	v_fmac_f32_e32 v44, v45, v8
	v_mul_f32_e32 v45, v24, v7
	v_fmac_f32_e32 v43, v47, v10
	v_fma_f32 v23, v23, v10, -v13
	v_fma_f32 v24, v24, v6, -v12
	s_waitcnt lgkmcnt(3)
	v_mul_f32_e32 v47, v26, v9
	v_mul_f32_e32 v12, v50, v9
	v_fmac_f32_e32 v46, v49, v6
	v_mul_f32_e32 v13, v49, v7
	v_mul_f32_e32 v49, v51, v9
	v_fmac_f32_e32 v45, v48, v6
	v_mul_f32_e32 v48, v27, v9
	v_fmac_f32_e32 v47, v50, v8
	v_fma_f32 v26, v26, v8, -v12
	v_fma_f32 v25, v25, v6, -v13
	s_waitcnt lgkmcnt(1)
	v_mul_f32_e32 v50, v30, v7
	v_fma_f32 v27, v27, v8, -v49
	v_mul_f32_e32 v49, v60, v7
	ds_read2st64_b32 v[12:13], v56 offset0:60 offset1:62
	v_fmac_f32_e32 v48, v51, v8
	v_mul_f32_e32 v51, v31, v7
	v_fmac_f32_e32 v50, v60, v6
	v_fma_f32 v30, v30, v6, -v49
	s_waitcnt lgkmcnt(1)
	v_mul_f32_e32 v49, v32, v9
	v_mul_f32_e32 v60, v33, v9
	;; [unrolled: 1-line block ×3, first 2 shown]
	v_fmac_f32_e32 v51, v61, v6
	v_mul_f32_e32 v61, v62, v9
	v_mul_f32_e32 v9, v63, v9
	v_fmac_f32_e32 v49, v62, v8
	v_fmac_f32_e32 v60, v63, v8
	v_mul_f32_e32 v62, v52, v11
	v_mul_f32_e32 v63, v29, v11
	v_fma_f32 v32, v32, v8, -v61
	v_mul_f32_e32 v61, v28, v11
	v_sub_f32_e32 v14, v0, v14
	v_fma_f32 v28, v28, v10, -v62
	v_fmac_f32_e32 v63, v53, v10
	v_sub_f32_e32 v53, v66, v109
	v_sub_f32_e32 v62, v35, v36
	;; [unrolled: 1-line block ×3, first 2 shown]
	v_fmac_f32_e32 v61, v52, v10
	s_waitcnt lgkmcnt(0)
	v_mul_f32_e32 v52, v12, v11
	v_fma_f32 v36, v66, 2.0, -v53
	v_fma_f32 v0, v0, 2.0, -v14
	;; [unrolled: 1-line block ×4, first 2 shown]
	v_fmac_f32_e32 v52, v64, v10
	v_mul_f32_e32 v64, v64, v11
	v_mul_f32_e32 v108, v13, v11
	;; [unrolled: 1-line block ×3, first 2 shown]
	v_sub_f32_e32 v109, v36, v35
	v_sub_f32_e32 v35, v0, v66
	v_fma_f32 v31, v31, v6, -v7
	ds_read2st64_b32 v[6:7], v56 offset0:8 offset1:10
	v_fma_f32 v29, v29, v10, -v112
	v_fma_f32 v12, v12, v10, -v64
	v_fmac_f32_e32 v108, v65, v10
	v_fma_f32 v10, v13, v10, -v11
	v_fma_f32 v11, v36, 2.0, -v109
	v_fma_f32 v36, v0, 2.0, -v35
	v_sub_f32_e32 v0, v105, v37
	v_sub_f32_e32 v37, v14, v62
	;; [unrolled: 1-line block ×4, first 2 shown]
	v_add_f32_e32 v13, v53, v16
	v_sub_f32_e32 v16, v110, v38
	v_fma_f32 v38, v14, 2.0, -v37
	v_fma_f32 v14, v67, 2.0, -v15
	;; [unrolled: 1-line block ×3, first 2 shown]
	v_sub_f32_e32 v66, v107, v39
	v_sub_f32_e32 v20, v106, v20
	;; [unrolled: 1-line block ×4, first 2 shown]
	v_fma_f32 v62, v105, 2.0, -v0
	v_sub_f32_e32 v39, v14, v65
	v_fma_f32 v65, v107, 2.0, -v66
	v_fma_f32 v67, v106, 2.0, -v20
	;; [unrolled: 1-line block ×4, first 2 shown]
	v_sub_f32_e32 v105, v15, v16
	v_fma_f32 v64, v110, 2.0, -v16
	v_sub_f32_e32 v42, v20, v42
	v_sub_f32_e32 v16, v65, v40
	;; [unrolled: 1-line block ×3, first 2 shown]
	v_fma_f32 v107, v15, 2.0, -v105
	v_sub_f32_e32 v15, v68, v44
	v_add_f32_e32 v18, v66, v22
	v_sub_f32_e32 v22, v41, v43
	v_sub_f32_e32 v21, v34, v21
	;; [unrolled: 1-line block ×3, first 2 shown]
	v_fma_f32 v33, v33, v8, -v9
	ds_read2st64_b32 v[8:9], v56 offset0:12 offset1:14
	v_fma_f32 v43, v68, 2.0, -v15
	v_fma_f32 v41, v41, 2.0, -v22
	;; [unrolled: 1-line block ×6, first 2 shown]
	s_waitcnt lgkmcnt(1)
	v_sub_f32_e32 v26, v6, v26
	v_sub_f32_e32 v28, v24, v28
	;; [unrolled: 1-line block ×6, first 2 shown]
	v_fma_f32 v6, v6, 2.0, -v26
	v_fma_f32 v24, v24, 2.0, -v28
	v_fma_f32 v106, v14, 2.0, -v39
	v_fma_f32 v14, v65, 2.0, -v16
	v_fma_f32 v65, v67, 2.0, -v40
	v_fma_f32 v19, v45, 2.0, -v47
	v_sub_f32_e32 v45, v21, v22
	v_sub_f32_e32 v67, v6, v24
	v_fma_f32 v68, v20, 2.0, -v61
	v_sub_f32_e32 v20, v46, v63
	v_sub_f32_e32 v22, v7, v27
	;; [unrolled: 1-line block ×3, first 2 shown]
	v_fma_f32 v110, v21, 2.0, -v45
	v_add_f32_e32 v21, v41, v28
	v_fma_f32 v27, v46, 2.0, -v20
	v_sub_f32_e32 v46, v26, v47
	v_fma_f32 v7, v7, 2.0, -v22
	v_fma_f32 v25, v25, 2.0, -v24
	v_sub_f32_e32 v64, v62, v64
	v_fma_f32 v53, v53, 2.0, -v13
	v_add_f32_e32 v17, v0, v17
	s_waitcnt lgkmcnt(0)
	v_sub_f32_e32 v29, v8, v32
	v_sub_f32_e32 v12, v30, v12
	v_fma_f32 v4, v4, 2.0, -v41
	v_fma_f32 v111, v6, 2.0, -v67
	v_sub_f32_e32 v6, v5, v48
	v_fma_f32 v28, v41, 2.0, -v21
	v_fma_f32 v41, v26, 2.0, -v46
	v_sub_f32_e32 v26, v2, v49
	v_sub_f32_e32 v47, v7, v25
	;; [unrolled: 1-line block ×4, first 2 shown]
	v_fma_f32 v62, v62, 2.0, -v64
	s_barrier
	buffer_gl0_inv
	ds_write_b32 v56, v11
	ds_write_b32 v57, v53
	v_lshl_add_u32 v53, v81, 2, v59
	v_fma_f32 v0, v0, 2.0, -v17
	v_lshl_add_u32 v81, v88, 2, v59
	v_lshl_add_u32 v88, v95, 2, v59
	v_fma_f32 v8, v8, 2.0, -v29
	v_fma_f32 v20, v30, 2.0, -v12
	ds_write_b32 v54, v109
	ds_write_b32 v58, v13
	;; [unrolled: 1-line block ×5, first 2 shown]
	v_lshl_add_u32 v62, v80, 2, v59
	v_add_f32_e32 v23, v15, v23
	v_fma_f32 v2, v2, 2.0, -v26
	v_fma_f32 v32, v50, 2.0, -v25
	;; [unrolled: 1-line block ×4, first 2 shown]
	v_sub_f32_e32 v7, v3, v60
	v_sub_f32_e32 v22, v51, v108
	v_lshl_add_u32 v64, v82, 2, v59
	v_lshl_add_u32 v80, v89, 2, v59
	v_fma_f32 v5, v5, 2.0, -v6
	v_lshl_add_u32 v82, v96, 2, v59
	v_sub_f32_e32 v19, v4, v19
	v_lshl_add_u32 v89, v102, 2, v59
	v_fma_f32 v43, v43, 2.0, -v34
	v_sub_f32_e32 v52, v8, v20
	v_sub_f32_e32 v20, v9, v33
	;; [unrolled: 1-line block ×3, first 2 shown]
	ds_write_b32 v62, v17
	ds_write_b32 v64, v14
	;; [unrolled: 1-line block ×5, first 2 shown]
	v_lshl_add_u32 v44, v83, 2, v59
	v_fma_f32 v15, v15, 2.0, -v23
	v_sub_f32_e32 v30, v2, v32
	v_fma_f32 v3, v3, 2.0, -v7
	v_fma_f32 v32, v51, 2.0, -v22
	v_lshl_add_u32 v83, v90, 2, v59
	v_lshl_add_u32 v90, v97, 2, v59
	v_sub_f32_e32 v27, v5, v27
	v_add_f32_e32 v12, v26, v12
	v_fma_f32 v4, v4, 2.0, -v19
	v_add_f32_e32 v24, v6, v24
	v_fma_f32 v9, v9, 2.0, -v20
	v_fma_f32 v31, v31, 2.0, -v10
	ds_write_b32 v44, v43
	ds_write_b32 v83, v15
	;; [unrolled: 1-line block ×5, first 2 shown]
	v_lshl_add_u32 v43, v91, 2, v59
	v_lshl_add_u32 v96, v99, 2, v59
	v_sub_f32_e32 v60, v29, v25
	v_sub_f32_e32 v25, v3, v32
	v_lshl_add_u32 v91, v98, 2, v59
	v_fma_f32 v2, v2, 2.0, -v30
	v_add_f32_e32 v10, v7, v10
	v_lshl_add_u32 v95, v103, 2, v59
	v_fma_f32 v5, v5, 2.0, -v27
	v_fma_f32 v51, v8, 2.0, -v52
	v_fma_f32 v8, v26, 2.0, -v12
	v_fma_f32 v6, v6, 2.0, -v24
	v_lshl_add_u32 v97, v100, 2, v59
	v_sub_f32_e32 v63, v9, v31
	v_sub_f32_e32 v108, v20, v22
	ds_write_b32 v43, v28
	ds_write_b32 v91, v19
	;; [unrolled: 1-line block ×10, first 2 shown]
	v_lshl_add_u32 v2, v104, 2, v59
	v_fma_f32 v3, v3, 2.0, -v25
	v_fma_f32 v7, v7, 2.0, -v10
	v_lshl_add_u32 v98, v101, 2, v59
	v_lshl_add_u32 v59, v77, 2, v59
	v_fma_f32 v112, v29, 2.0, -v60
	v_fma_f32 v113, v9, 2.0, -v63
	;; [unrolled: 1-line block ×3, first 2 shown]
	ds_write_b32 v2, v12
	ds_write_b32 v87, v3
	;; [unrolled: 1-line block ×5, first 2 shown]
	s_waitcnt lgkmcnt(0)
	s_barrier
	buffer_gl0_inv
	ds_read_b32 v32, v55
	ds_read2st64_b32 v[6:7], v56 offset0:8 offset1:10
	ds_read2st64_b32 v[12:13], v56 offset0:16 offset1:18
	;; [unrolled: 1-line block ×7, first 2 shown]
	ds_read_b32 v0, v58
	ds_read_b32 v33, v57
	;; [unrolled: 1-line block ×3, first 2 shown]
	ds_read2st64_b32 v[20:21], v56 offset0:12 offset1:14
	ds_read2st64_b32 v[24:25], v56 offset0:20 offset1:22
	;; [unrolled: 1-line block ×7, first 2 shown]
	s_waitcnt lgkmcnt(0)
	s_barrier
	buffer_gl0_inv
	ds_write_b32 v56, v36
	ds_write_b32 v57, v38
	;; [unrolled: 1-line block ×32, first 2 shown]
	s_waitcnt lgkmcnt(0)
	s_barrier
	buffer_gl0_inv
	s_and_saveexec_b32 s8, vcc_lo
	s_cbranch_execz .LBB0_10
; %bb.9:
	v_mul_u32_u24_e32 v2, 7, v69
	v_mad_u64_u32 v[103:104], null, s2, v1, 0
	v_mul_lo_u32 v133, s11, v70
	v_mul_lo_u32 v134, s10, v71
	v_lshlrev_b32_e32 v3, 3, v2
	v_mul_i32_i24_e32 v2, 7, v75
	v_mad_u64_u32 v[70:71], null, s10, v70, 0
	v_add_co_u32 v37, s8, s6, v3
	v_mov_b32_e32 v3, 0
	v_add_co_ci_u32_e64 v38, null, s7, 0, s8
	v_add_co_u32 v35, vcc_lo, 0x800, v37
	v_lshlrev_b64 v[43:44], 3, v[2:3]
	v_add_co_ci_u32_e32 v36, vcc_lo, 0, v38, vcc_lo
	v_add_co_u32 v47, vcc_lo, 0xfc0, v37
	v_add_co_ci_u32_e32 v48, vcc_lo, 0, v38, vcc_lo
	v_add_co_u32 v2, vcc_lo, s6, v43
	v_add_co_ci_u32_e32 v53, vcc_lo, s7, v44, vcc_lo
	s_clause 0x1
	global_load_dwordx4 v[35:38], v[35:36], off offset:1984
	global_load_dwordx4 v[39:42], v[47:48], off offset:32
	v_add_co_u32 v49, vcc_lo, 0x800, v2
	v_add_co_ci_u32_e32 v50, vcc_lo, 0, v53, vcc_lo
	v_add_co_u32 v67, vcc_lo, 0xfc0, v2
	v_mul_i32_i24_e32 v2, 7, v74
	v_add_co_ci_u32_e32 v68, vcc_lo, 0, v53, vcc_lo
	s_clause 0x2
	global_load_dwordx4 v[43:46], v[47:48], off offset:16
	global_load_dwordx2 v[51:52], v[47:48], off offset:48
	global_load_dwordx4 v[47:50], v[49:50], off offset:1984
	v_lshlrev_b64 v[74:75], 3, v[2:3]
	s_clause 0x2
	global_load_dwordx4 v[59:62], v[67:68], off offset:32
	global_load_dwordx4 v[63:66], v[67:68], off offset:16
	global_load_dwordx2 v[67:68], v[67:68], off offset:48
	v_add3_u32 v71, v71, v134, v133
	v_add_co_u32 v2, vcc_lo, s6, v74
	v_add_co_ci_u32_e32 v53, vcc_lo, s7, v75, vcc_lo
	v_add_co_u32 v74, vcc_lo, 0xfc0, v2
	v_add_co_ci_u32_e32 v75, vcc_lo, 0, v53, vcc_lo
	v_add_co_u32 v81, vcc_lo, 0x800, v2
	v_mul_i32_i24_e32 v2, 7, v76
	v_add_co_ci_u32_e32 v82, vcc_lo, 0, v53, vcc_lo
	s_clause 0x3
	global_load_dwordx4 v[77:80], v[74:75], off offset:16
	global_load_dwordx2 v[101:102], v[74:75], off offset:48
	global_load_dwordx4 v[81:84], v[81:82], off offset:1984
	global_load_dwordx4 v[85:88], v[74:75], off offset:32
	v_lshlrev_b64 v[74:75], 3, v[2:3]
	v_mul_lo_u32 v76, s0, v73
	v_add_co_u32 v2, vcc_lo, s6, v74
	v_add_co_ci_u32_e32 v53, vcc_lo, s7, v75, vcc_lo
	v_add_co_u32 v74, vcc_lo, 0xfc0, v2
	v_add_co_ci_u32_e32 v75, vcc_lo, 0, v53, vcc_lo
	;; [unrolled: 2-line block ×3, first 2 shown]
	s_clause 0x3
	global_load_dwordx4 v[89:92], v[74:75], off offset:16
	global_load_dwordx4 v[93:96], v[93:94], off offset:1984
	;; [unrolled: 1-line block ×3, first 2 shown]
	global_load_dwordx2 v[74:75], v[74:75], off offset:48
	ds_read2st64_b32 v[105:106], v56 offset0:36 offset1:38
	ds_read2st64_b32 v[107:108], v56 offset0:20 offset1:22
	;; [unrolled: 1-line block ×14, first 2 shown]
	v_mov_b32_e32 v2, v104
	v_mul_lo_u32 v53, s1, v72
	v_mad_u64_u32 v[72:73], null, s0, v72, 0
	s_load_dwordx2 s[0:1], s[4:5], 0x58
	v_mad_u64_u32 v[1:2], null, s3, v1, v[2:3]
	ds_read_b32 v2, v55
	ds_read_b32 v55, v58
	;; [unrolled: 1-line block ×4, first 2 shown]
	v_add3_u32 v73, v73, v76, v53
	v_mov_b32_e32 v104, v1
	s_waitcnt vmcnt(15) lgkmcnt(0)
	v_mul_f32_e32 v53, v38, v115
	v_mul_f32_e32 v1, v6, v36
	;; [unrolled: 1-line block ×4, first 2 shown]
	s_waitcnt vmcnt(14)
	v_mul_f32_e32 v38, v42, v123
	v_mul_f32_e32 v58, v8, v40
	;; [unrolled: 1-line block ×4, first 2 shown]
	v_fmac_f32_e32 v53, v12, v37
	v_fma_f32 v119, v35, v119, -v1
	v_fmac_f32_e32 v57, v6, v35
	s_waitcnt vmcnt(13)
	v_mul_f32_e32 v76, v4, v46
	v_mul_f32_e32 v133, v44, v129
	;; [unrolled: 1-line block ×3, first 2 shown]
	v_fma_f32 v115, v37, v115, -v36
	v_mul_f32_e32 v1, v127, v46
	s_waitcnt vmcnt(12)
	v_mul_f32_e32 v6, v52, v131
	s_waitcnt vmcnt(11)
	v_mul_f32_e32 v35, v50, v108
	v_fmac_f32_e32 v38, v16, v41
	v_fma_f32 v16, v39, v125, -v58
	v_fmac_f32_e32 v40, v8, v39
	v_mul_f32_e32 v36, v21, v48
	v_mul_f32_e32 v37, v112, v48
	;; [unrolled: 1-line block ×4, first 2 shown]
	v_fma_f32 v8, v41, v123, -v42
	s_waitcnt vmcnt(10)
	v_mul_f32_e32 v41, v62, v110
	v_fma_f32 v42, v45, v127, -v76
	v_fmac_f32_e32 v133, v10, v43
	v_fma_f32 v58, v43, v129, -v44
	v_fmac_f32_e32 v1, v4, v45
	v_mul_f32_e32 v4, v23, v60
	v_mul_f32_e32 v10, v114, v60
	;; [unrolled: 1-line block ×3, first 2 shown]
	s_waitcnt vmcnt(9)
	v_mul_f32_e32 v44, v19, v66
	v_fmac_f32_e32 v35, v25, v49
	v_fma_f32 v25, v47, v112, -v36
	v_fmac_f32_e32 v37, v21, v47
	v_fma_f32 v21, v49, v108, -v39
	s_waitcnt vmcnt(8)
	v_mul_f32_e32 v36, v68, v122
	v_mul_f32_e32 v39, v31, v68
	;; [unrolled: 1-line block ×4, first 2 shown]
	v_fmac_f32_e32 v6, v14, v51
	v_mul_f32_e32 v14, v106, v66
	v_fma_f32 v12, v51, v131, -v12
	v_fmac_f32_e32 v41, v27, v61
	v_fma_f32 v4, v59, v114, -v4
	v_fmac_f32_e32 v10, v23, v59
	v_fma_f32 v23, v61, v110, -v43
	v_fmac_f32_e32 v36, v31, v67
	v_fma_f32 v27, v67, v122, -v39
	v_fma_f32 v31, v65, v106, -v44
	v_fmac_f32_e32 v45, v29, v63
	v_fma_f32 v29, v63, v118, -v46
	s_waitcnt vmcnt(7)
	v_mul_f32_e32 v39, v78, v117
	v_fmac_f32_e32 v14, v19, v65
	s_waitcnt vmcnt(6)
	v_mul_f32_e32 v19, v102, v121
	s_waitcnt vmcnt(5)
	v_mul_f32_e32 v46, v20, v82
	;; [unrolled: 2-line block ×3, first 2 shown]
	v_mul_f32_e32 v50, v84, v107
	v_mul_f32_e32 v52, v88, v109
	;; [unrolled: 1-line block ×8, first 2 shown]
	v_fmac_f32_e32 v39, v28, v77
	v_mul_f32_e32 v28, v26, v88
	v_fmac_f32_e32 v19, v30, v101
	v_mul_f32_e32 v30, v105, v80
	v_sub_f32_e32 v62, v119, v16
	v_sub_f32_e32 v64, v58, v12
	;; [unrolled: 1-line block ×3, first 2 shown]
	v_fma_f32 v8, v81, v111, -v46
	v_fma_f32 v12, v85, v113, -v48
	v_fmac_f32_e32 v50, v24, v83
	v_fmac_f32_e32 v52, v26, v87
	v_fma_f32 v16, v79, v105, -v59
	v_sub_f32_e32 v24, v55, v31
	v_sub_f32_e32 v27, v29, v27
	;; [unrolled: 1-line block ×9, first 2 shown]
	v_fma_f32 v6, v77, v117, -v43
	v_fma_f32 v1, v101, v121, -v44
	v_sub_f32_e32 v26, v35, v41
	v_sub_f32_e32 v4, v25, v4
	;; [unrolled: 1-line block ×4, first 2 shown]
	v_fmac_f32_e32 v47, v20, v81
	v_fmac_f32_e32 v49, v22, v85
	v_fma_f32 v20, v83, v107, -v51
	v_fma_f32 v22, v87, v109, -v28
	v_fmac_f32_e32 v30, v18, v79
	s_waitcnt vmcnt(3)
	v_mul_f32_e32 v18, v5, v92
	s_waitcnt vmcnt(2)
	v_mul_f32_e32 v28, v96, v116
	;; [unrolled: 2-line block ×3, first 2 shown]
	v_mul_f32_e32 v38, v7, v94
	v_mul_f32_e32 v40, v9, v98
	v_mul_f32_e32 v41, v90, v130
	s_waitcnt vmcnt(0)
	v_mul_f32_e32 v42, v75, v132
	v_mul_f32_e32 v43, v11, v90
	;; [unrolled: 1-line block ×8, first 2 shown]
	v_add_f32_e32 v81, v10, v27
	v_fma_f32 v55, v55, 2.0, -v24
	v_fma_f32 v21, v21, 2.0, -v23
	;; [unrolled: 1-line block ×3, first 2 shown]
	v_sub_f32_e32 v16, v54, v16
	v_sub_f32_e32 v29, v50, v52
	;; [unrolled: 1-line block ×6, first 2 shown]
	v_add_f32_e32 v82, v14, v23
	v_fma_f32 v23, v37, 2.0, -v10
	v_fma_f32 v31, v45, 2.0, -v31
	;; [unrolled: 1-line block ×5, first 2 shown]
	v_sub_f32_e32 v35, v6, v1
	v_sub_f32_e32 v45, v47, v49
	;; [unrolled: 1-line block ×4, first 2 shown]
	v_fma_f32 v18, v91, v128, -v18
	v_fmac_f32_e32 v28, v13, v95
	v_fmac_f32_e32 v36, v17, v99
	v_fma_f32 v13, v93, v120, -v38
	v_fma_f32 v17, v97, v126, -v40
	v_fmac_f32_e32 v41, v11, v89
	v_fmac_f32_e32 v42, v15, v74
	v_fma_f32 v11, v89, v130, -v43
	;; [unrolled: 4-line block ×3, first 2 shown]
	v_fma_f32 v7, v99, v124, -v59
	v_fmac_f32_e32 v68, v5, v91
	v_sub_f32_e32 v21, v55, v21
	v_sub_f32_e32 v43, v16, v29
	;; [unrolled: 1-line block ×3, first 2 shown]
	v_fmamk_f32 v0, v81, 0x3f3504f3, v82
	v_sub_f32_e32 v31, v23, v31
	v_sub_f32_e32 v26, v37, v26
	;; [unrolled: 1-line block ×3, first 2 shown]
	v_fma_f32 v24, v24, 2.0, -v79
	v_fma_f32 v38, v4, 2.0, -v80
	;; [unrolled: 1-line block ×4, first 2 shown]
	v_add_f32_e32 v49, v45, v35
	v_add_f32_e32 v51, v30, v22
	v_fma_f32 v52, v54, 2.0, -v16
	v_fma_f32 v20, v20, 2.0, -v22
	;; [unrolled: 1-line block ×8, first 2 shown]
	v_sub_f32_e32 v35, v56, v18
	v_sub_f32_e32 v18, v28, v36
	;; [unrolled: 1-line block ×8, first 2 shown]
	v_fma_f32 v54, v55, 2.0, -v21
	v_fma_f32 v55, v16, 2.0, -v43
	;; [unrolled: 1-line block ×3, first 2 shown]
	v_fmamk_f32 v1, v80, 0x3f3504f3, v79
	v_fmac_f32_e32 v0, 0x3f3504f3, v80
	v_sub_f32_e32 v5, v21, v31
	v_add_f32_e32 v4, v26, v27
	v_fmamk_f32 v7, v38, 0xbf3504f3, v24
	v_fmamk_f32 v6, v10, 0xbf3504f3, v40
	v_fma_f32 v25, v25, 2.0, -v27
	v_fma_f32 v27, v37, 2.0, -v26
	;; [unrolled: 1-line block ×3, first 2 shown]
	v_fmamk_f32 v15, v44, 0x3f3504f3, v43
	v_fmamk_f32 v14, v49, 0x3f3504f3, v51
	v_sub_f32_e32 v31, v52, v20
	v_sub_f32_e32 v20, v22, v19
	;; [unrolled: 1-line block ×4, first 2 shown]
	v_fma_f32 v45, v45, 2.0, -v49
	v_fma_f32 v68, v30, 2.0, -v51
	v_sub_f32_e32 v74, v35, v18
	v_sub_f32_e32 v80, v36, v17
	v_add_f32_e32 v83, v50, v48
	v_fma_f32 v56, v56, 2.0, -v35
	v_fma_f32 v30, v9, 2.0, -v48
	v_fma_f32 v46, v46, 2.0, -v47
	v_fma_f32 v41, v41, 2.0, -v17
	v_fma_f32 v48, v33, 2.0, -v50
	v_fma_f32 v28, v28, 2.0, -v18
	v_fma_f32 v84, v13, 2.0, -v36
	v_fma_f32 v33, v11, 2.0, -v42
	v_fmamk_f32 v19, v59, 0xbf3504f3, v55
	v_sub_f32_e32 v75, v60, v61
	v_sub_f32_e32 v76, v62, v63
	v_fmac_f32_e32 v1, 0xbf3504f3, v81
	v_add_f32_e32 v81, v47, v42
	v_fma_f32 v13, v21, 2.0, -v5
	v_fmac_f32_e32 v7, 0xbf3504f3, v10
	v_fmac_f32_e32 v6, 0x3f3504f3, v38
	v_sub_f32_e32 v11, v54, v25
	v_sub_f32_e32 v10, v27, v23
	v_fmac_f32_e32 v15, 0xbf3504f3, v49
	v_fmac_f32_e32 v14, 0x3f3504f3, v44
	v_sub_f32_e32 v17, v31, v20
	v_fma_f32 v42, v52, 2.0, -v31
	v_fma_f32 v38, v39, 2.0, -v29
	v_fmamk_f32 v21, v80, 0x3f3504f3, v74
	v_sub_f32_e32 v44, v56, v30
	v_sub_f32_e32 v41, v46, v41
	;; [unrolled: 1-line block ×4, first 2 shown]
	v_fmac_f32_e32 v19, 0xbf3504f3, v45
	v_fmamk_f32 v18, v45, 0xbf3504f3, v68
	v_add_f32_e32 v77, v65, v64
	v_fma_f32 v12, v26, 2.0, -v4
	v_add_f32_e32 v16, v37, v29
	v_fma_f32 v23, v24, 2.0, -v7
	v_fma_f32 v25, v54, 2.0, -v11
	;; [unrolled: 1-line block ×6, first 2 shown]
	v_sub_f32_e32 v31, v42, v38
	v_fmac_f32_e32 v21, 0xbf3504f3, v81
	v_add_f32_e32 v33, v49, v52
	v_fma_f32 v51, v56, 2.0, -v44
	v_fma_f32 v43, v84, 2.0, -v52
	;; [unrolled: 1-line block ×5, first 2 shown]
	v_fmamk_f32 v52, v76, 0x3f3504f3, v75
	v_fma_f32 v2, v2, 2.0, -v60
	v_fma_f32 v55, v115, 2.0, -v66
	;; [unrolled: 1-line block ×4, first 2 shown]
	v_fmac_f32_e32 v18, 0x3f3504f3, v59
	v_fma_f32 v32, v32, 2.0, -v67
	v_fma_f32 v59, v53, 2.0, -v61
	;; [unrolled: 1-line block ×4, first 2 shown]
	v_add_f32_e32 v78, v67, v66
	v_fma_f32 v9, v79, 2.0, -v1
	v_fma_f32 v39, v34, 2.0, -v37
	;; [unrolled: 1-line block ×7, first 2 shown]
	v_sub_f32_e32 v45, v54, v45
	v_fmac_f32_e32 v52, 0xbf3504f3, v77
	v_sub_f32_e32 v55, v2, v55
	v_sub_f32_e32 v63, v57, v56
	v_fma_f32 v74, v60, 2.0, -v75
	v_fma_f32 v66, v62, 2.0, -v76
	;; [unrolled: 1-line block ×4, first 2 shown]
	v_sub_f32_e32 v68, v32, v59
	v_sub_f32_e32 v59, v61, v58
	v_fma_f32 v47, v47, 2.0, -v81
	v_fma_f32 v50, v50, 2.0, -v83
	v_sub_f32_e32 v46, v51, v43
	v_fma_f32 v43, v49, 2.0, -v33
	v_fma_f32 v49, v54, 2.0, -v45
	;; [unrolled: 1-line block ×3, first 2 shown]
	v_sub_f32_e32 v56, v55, v63
	v_fma_f32 v64, v65, 2.0, -v77
	v_fma_f32 v75, v67, 2.0, -v78
	v_fmamk_f32 v60, v66, 0xbf3504f3, v74
	v_fma_f32 v2, v2, 2.0, -v55
	v_fma_f32 v61, v61, 2.0, -v59
	;; [unrolled: 1-line block ×4, first 2 shown]
	v_fmamk_f32 v35, v47, 0xbf3504f3, v50
	v_fma_f32 v58, v55, 2.0, -v56
	v_add_f32_e32 v55, v68, v59
	v_fmamk_f32 v59, v64, 0xbf3504f3, v75
	v_fma_f32 v57, v57, 2.0, -v63
	v_fmac_f32_e32 v60, 0xbf3504f3, v64
	v_lshlrev_b64 v[63:64], 3, v[103:104]
	v_sub_f32_e32 v62, v2, v61
	v_fmamk_f32 v36, v82, 0xbf3504f3, v79
	v_fmac_f32_e32 v35, 0x3f3504f3, v82
	v_fma_f32 v32, v32, 2.0, -v68
	v_fmac_f32_e32 v59, 0x3f3504f3, v66
	v_lshlrev_b64 v[66:67], 3, v[72:73]
	v_fma_f32 v65, v2, 2.0, -v62
	v_add_co_u32 v2, vcc_lo, s0, v63
	v_fmac_f32_e32 v36, 0xbf3504f3, v47
	v_fma_f32 v47, v50, 2.0, -v35
	v_fma_f32 v50, v51, 2.0, -v46
	v_fmamk_f32 v51, v77, 0x3f3504f3, v78
	v_sub_f32_e32 v61, v32, v57
	v_add_co_ci_u32_e32 v57, vcc_lo, s1, v64, vcc_lo
	v_lshlrev_b64 v[63:64], 3, v[70:71]
	v_lshlrev_b32_e32 v70, 3, v69
	v_add_co_u32 v2, vcc_lo, v2, v66
	v_fmac_f32_e32 v51, 0x3f3504f3, v76
	v_add_co_ci_u32_e32 v57, vcc_lo, v57, v67, vcc_lo
	v_and_b32_e32 v76, 0xff8, v70
	v_add_co_u32 v77, vcc_lo, v2, v63
	v_fma_f32 v53, v78, 2.0, -v51
	v_add_co_ci_u32_e32 v78, vcc_lo, v57, v64, vcc_lo
	v_add_co_u32 v66, vcc_lo, v77, v76
	v_or_b32_e32 v2, 0x1000, v76
	v_fma_f32 v64, v32, 2.0, -v61
	v_add_co_ci_u32_e32 v67, vcc_lo, 0, v78, vcc_lo
	v_or_b32_e32 v32, 0x2000, v76
	v_add_co_u32 v63, vcc_lo, v77, v2
	v_or_b32_e32 v2, 0x3000, v76
	global_store_dwordx2 v[66:67], v[64:65], off
	v_add_co_ci_u32_e32 v64, vcc_lo, 0, v78, vcc_lo
	v_add_co_u32 v65, vcc_lo, v77, v32
	v_or_b32_e32 v32, 0x4000, v76
	v_add_co_ci_u32_e32 v66, vcc_lo, 0, v78, vcc_lo
	v_add_co_u32 v67, vcc_lo, v77, v2
	v_fma_f32 v57, v68, 2.0, -v55
	v_add_co_ci_u32_e32 v68, vcc_lo, 0, v78, vcc_lo
	v_add_co_u32 v72, vcc_lo, v77, v32
	v_fma_f32 v71, v74, 2.0, -v60
	v_fma_f32 v70, v75, 2.0, -v59
	v_or_b32_e32 v2, 0x5000, v76
	v_add_nc_u32_e32 v32, 0x80, v69
	v_add_co_ci_u32_e32 v73, vcc_lo, 0, v78, vcc_lo
	global_store_dwordx2 v[63:64], v[70:71], off
	global_store_dwordx2 v[65:66], v[57:58], off
	global_store_dwordx2 v[67:68], v[53:54], off
	global_store_dwordx2 v[72:73], v[61:62], off
	v_add_co_u32 v53, vcc_lo, v77, v2
	v_or_b32_e32 v2, 0x6000, v76
	v_lshlrev_b32_e32 v62, 3, v32
	v_and_b32_e32 v32, 0x1ff, v32
	v_or_b32_e32 v61, 0x7000, v76
	v_add_co_ci_u32_e32 v54, vcc_lo, 0, v78, vcc_lo
	v_add_co_u32 v57, vcc_lo, v77, v2
	v_and_or_b32 v2, 0xfffff000, v62, v32
	v_add_co_ci_u32_e32 v58, vcc_lo, 0, v78, vcc_lo
	v_add_co_u32 v61, vcc_lo, v77, v61
	v_add_co_ci_u32_e32 v62, vcc_lo, 0, v78, vcc_lo
	v_or_b32_e32 v63, 0x200, v2
	v_mov_b32_e32 v64, v3
	global_store_dwordx2 v[53:54], v[59:60], off
	global_store_dwordx2 v[57:58], v[55:56], off
	v_lshlrev_b64 v[53:54], 3, v[2:3]
	v_or_b32_e32 v55, 0x400, v2
	v_mov_b32_e32 v56, v3
	global_store_dwordx2 v[61:62], v[51:52], off
	v_lshlrev_b64 v[51:52], 3, v[63:64]
	v_sub_f32_e32 v30, v39, v34
	v_add_co_u32 v53, vcc_lo, v77, v53
	v_lshlrev_b64 v[55:56], 3, v[55:56]
	v_add_co_ci_u32_e32 v54, vcc_lo, v78, v54, vcc_lo
	v_sub_f32_e32 v34, v44, v41
	v_add_co_u32 v51, vcc_lo, v77, v51
	v_add_co_ci_u32_e32 v52, vcc_lo, v78, v52, vcc_lo
	v_or_b32_e32 v57, 0x600, v2
	v_mov_b32_e32 v58, v3
	v_fma_f32 v48, v79, 2.0, -v36
	v_add_co_u32 v55, vcc_lo, v77, v55
	v_fma_f32 v44, v44, 2.0, -v34
	v_add_co_ci_u32_e32 v56, vcc_lo, v78, v56, vcc_lo
	v_or_b32_e32 v59, 0x800, v2
	v_mov_b32_e32 v60, v3
	global_store_dwordx2 v[53:54], v[49:50], off
	global_store_dwordx2 v[51:52], v[47:48], off
	v_lshlrev_b64 v[47:48], 3, v[57:58]
	v_or_b32_e32 v49, 0xa00, v2
	v_mov_b32_e32 v50, v3
	global_store_dwordx2 v[55:56], v[43:44], off
	v_lshlrev_b64 v[43:44], 3, v[59:60]
	v_fmamk_f32 v20, v81, 0x3f3504f3, v83
	v_or_b32_e32 v51, 0xc00, v2
	v_mov_b32_e32 v52, v3
	v_add_nc_u32_e32 v32, 0x100, v69
	v_add_co_u32 v47, vcc_lo, v77, v47
	v_lshlrev_b64 v[49:50], 3, v[49:50]
	v_add_co_ci_u32_e32 v48, vcc_lo, v78, v48, vcc_lo
	v_fmac_f32_e32 v20, 0x3f3504f3, v80
	v_add_co_u32 v43, vcc_lo, v77, v43
	v_lshlrev_b64 v[51:52], 3, v[51:52]
	v_or_b32_e32 v2, 0xe00, v2
	v_lshlrev_b32_e32 v55, 3, v32
	v_and_b32_e32 v32, 0x1ff, v32
	v_add_co_ci_u32_e32 v44, vcc_lo, v78, v44, vcc_lo
	v_add_co_u32 v49, vcc_lo, v77, v49
	v_fma_f32 v41, v83, 2.0, -v20
	v_add_co_ci_u32_e32 v50, vcc_lo, v78, v50, vcc_lo
	v_lshlrev_b64 v[53:54], 3, v[2:3]
	v_and_or_b32 v2, 0xfffff000, v55, v32
	v_add_co_u32 v51, vcc_lo, v77, v51
	v_add_co_ci_u32_e32 v52, vcc_lo, v78, v52, vcc_lo
	global_store_dwordx2 v[47:48], v[41:42], off
	global_store_dwordx2 v[43:44], v[45:46], off
	;; [unrolled: 1-line block ×4, first 2 shown]
	v_or_b32_e32 v34, 0x200, v2
	v_mov_b32_e32 v35, v3
	v_lshlrev_b64 v[32:33], 3, v[2:3]
	v_add_co_u32 v41, vcc_lo, v77, v53
	v_add_co_ci_u32_e32 v42, vcc_lo, v78, v54, vcc_lo
	v_lshlrev_b64 v[34:35], 3, v[34:35]
	v_add_co_u32 v32, vcc_lo, v77, v32
	v_add_co_ci_u32_e32 v33, vcc_lo, v78, v33, vcc_lo
	v_or_b32_e32 v43, 0x400, v2
	v_add_co_u32 v34, vcc_lo, v77, v34
	v_mov_b32_e32 v44, v3
	v_fma_f32 v39, v39, 2.0, -v30
	v_add_co_ci_u32_e32 v35, vcc_lo, v78, v35, vcc_lo
	v_or_b32_e32 v45, 0x600, v2
	v_mov_b32_e32 v46, v3
	global_store_dwordx2 v[41:42], v[20:21], off
	global_store_dwordx2 v[32:33], v[39:40], off
	v_lshlrev_b64 v[20:21], 3, v[43:44]
	global_store_dwordx2 v[34:35], v[37:38], off
	v_or_b32_e32 v34, 0x800, v2
	v_mov_b32_e32 v35, v3
	v_lshlrev_b64 v[32:33], 3, v[45:46]
	v_or_b32_e32 v36, 0xa00, v2
	v_add_co_u32 v20, vcc_lo, v77, v20
	v_lshlrev_b64 v[34:35], 3, v[34:35]
	v_add_co_ci_u32_e32 v21, vcc_lo, v78, v21, vcc_lo
	v_add_co_u32 v32, vcc_lo, v77, v32
	v_add_co_ci_u32_e32 v33, vcc_lo, v78, v33, vcc_lo
	v_add_co_u32 v34, vcc_lo, v77, v34
	v_add_co_ci_u32_e32 v35, vcc_lo, v78, v35, vcc_lo
	v_mov_b32_e32 v37, v3
	v_or_b32_e32 v38, 0xc00, v2
	v_mov_b32_e32 v39, v3
	global_store_dwordx2 v[20:21], v[28:29], off
	global_store_dwordx2 v[32:33], v[26:27], off
	;; [unrolled: 1-line block ×3, first 2 shown]
	v_or_b32_e32 v2, 0xe00, v2
	v_add_nc_u32_e32 v30, 0x180, v69
	v_lshlrev_b64 v[20:21], 3, v[36:37]
	v_lshlrev_b64 v[26:27], 3, v[38:39]
	v_mov_b32_e32 v31, v3
	v_lshlrev_b64 v[28:29], 3, v[2:3]
	v_lshlrev_b32_e32 v2, 3, v30
	v_and_b32_e32 v30, 0x1ff, v30
	v_add_co_u32 v20, vcc_lo, v77, v20
	v_add_co_ci_u32_e32 v21, vcc_lo, v78, v21, vcc_lo
	v_add_co_u32 v26, vcc_lo, v77, v26
	v_and_or_b32 v2, 0xfffff000, v2, v30
	v_add_co_ci_u32_e32 v27, vcc_lo, v78, v27, vcc_lo
	v_add_co_u32 v28, vcc_lo, v77, v28
	v_add_co_ci_u32_e32 v29, vcc_lo, v78, v29, vcc_lo
	v_or_b32_e32 v30, 0x200, v2
	global_store_dwordx2 v[20:21], v[18:19], off
	global_store_dwordx2 v[26:27], v[16:17], off
	v_lshlrev_b64 v[16:17], 3, v[2:3]
	v_or_b32_e32 v18, 0x400, v2
	v_mov_b32_e32 v19, v3
	global_store_dwordx2 v[28:29], v[14:15], off
	v_lshlrev_b64 v[14:15], 3, v[30:31]
	v_or_b32_e32 v20, 0x600, v2
	v_add_co_u32 v16, vcc_lo, v77, v16
	v_lshlrev_b64 v[18:19], 3, v[18:19]
	v_add_co_ci_u32_e32 v17, vcc_lo, v78, v17, vcc_lo
	v_add_co_u32 v14, vcc_lo, v77, v14
	v_add_co_ci_u32_e32 v15, vcc_lo, v78, v15, vcc_lo
	v_mov_b32_e32 v21, v3
	v_add_co_u32 v18, vcc_lo, v77, v18
	v_add_co_ci_u32_e32 v19, vcc_lo, v78, v19, vcc_lo
	v_or_b32_e32 v26, 0x800, v2
	v_mov_b32_e32 v27, v3
	global_store_dwordx2 v[16:17], v[24:25], off
	global_store_dwordx2 v[14:15], v[22:23], off
	v_lshlrev_b64 v[14:15], 3, v[20:21]
	v_or_b32_e32 v16, 0xa00, v2
	v_mov_b32_e32 v17, v3
	global_store_dwordx2 v[18:19], v[12:13], off
	v_lshlrev_b64 v[12:13], 3, v[26:27]
	v_or_b32_e32 v18, 0xc00, v2
	v_mov_b32_e32 v19, v3
	v_add_co_u32 v14, vcc_lo, v77, v14
	v_lshlrev_b64 v[16:17], 3, v[16:17]
	v_or_b32_e32 v2, 0xe00, v2
	v_add_co_ci_u32_e32 v15, vcc_lo, v78, v15, vcc_lo
	v_add_co_u32 v12, vcc_lo, v77, v12
	v_lshlrev_b64 v[18:19], 3, v[18:19]
	v_add_co_ci_u32_e32 v13, vcc_lo, v78, v13, vcc_lo
	v_add_co_u32 v16, vcc_lo, v77, v16
	v_lshlrev_b64 v[2:3], 3, v[2:3]
	v_add_co_ci_u32_e32 v17, vcc_lo, v78, v17, vcc_lo
	v_add_co_u32 v18, vcc_lo, v77, v18
	v_add_co_ci_u32_e32 v19, vcc_lo, v78, v19, vcc_lo
	v_add_co_u32 v2, vcc_lo, v77, v2
	v_add_co_ci_u32_e32 v3, vcc_lo, v78, v3, vcc_lo
	global_store_dwordx2 v[14:15], v[8:9], off
	global_store_dwordx2 v[12:13], v[10:11], off
	;; [unrolled: 1-line block ×5, first 2 shown]
.LBB0_10:
	s_endpgm
	.section	.rodata,"a",@progbits
	.p2align	6, 0x0
	.amdhsa_kernel fft_rtc_back_len4096_factors_8_16_4_8_wgs_256_tpt_128_halfLds_dim3_sp_op_CI_CI_unitstride_sbrr_dirReg
		.amdhsa_group_segment_fixed_size 0
		.amdhsa_private_segment_fixed_size 0
		.amdhsa_kernarg_size 96
		.amdhsa_user_sgpr_count 6
		.amdhsa_user_sgpr_private_segment_buffer 1
		.amdhsa_user_sgpr_dispatch_ptr 0
		.amdhsa_user_sgpr_queue_ptr 0
		.amdhsa_user_sgpr_kernarg_segment_ptr 1
		.amdhsa_user_sgpr_dispatch_id 0
		.amdhsa_user_sgpr_flat_scratch_init 0
		.amdhsa_user_sgpr_private_segment_size 0
		.amdhsa_wavefront_size32 1
		.amdhsa_uses_dynamic_stack 0
		.amdhsa_system_sgpr_private_segment_wavefront_offset 0
		.amdhsa_system_sgpr_workgroup_id_x 1
		.amdhsa_system_sgpr_workgroup_id_y 0
		.amdhsa_system_sgpr_workgroup_id_z 0
		.amdhsa_system_sgpr_workgroup_info 0
		.amdhsa_system_vgpr_workitem_id 0
		.amdhsa_next_free_vgpr 135
		.amdhsa_next_free_sgpr 15
		.amdhsa_reserve_vcc 1
		.amdhsa_reserve_flat_scratch 0
		.amdhsa_float_round_mode_32 0
		.amdhsa_float_round_mode_16_64 0
		.amdhsa_float_denorm_mode_32 3
		.amdhsa_float_denorm_mode_16_64 3
		.amdhsa_dx10_clamp 1
		.amdhsa_ieee_mode 1
		.amdhsa_fp16_overflow 0
		.amdhsa_workgroup_processor_mode 1
		.amdhsa_memory_ordered 1
		.amdhsa_forward_progress 0
		.amdhsa_shared_vgpr_count 0
		.amdhsa_exception_fp_ieee_invalid_op 0
		.amdhsa_exception_fp_denorm_src 0
		.amdhsa_exception_fp_ieee_div_zero 0
		.amdhsa_exception_fp_ieee_overflow 0
		.amdhsa_exception_fp_ieee_underflow 0
		.amdhsa_exception_fp_ieee_inexact 0
		.amdhsa_exception_int_div_zero 0
	.end_amdhsa_kernel
	.text
.Lfunc_end0:
	.size	fft_rtc_back_len4096_factors_8_16_4_8_wgs_256_tpt_128_halfLds_dim3_sp_op_CI_CI_unitstride_sbrr_dirReg, .Lfunc_end0-fft_rtc_back_len4096_factors_8_16_4_8_wgs_256_tpt_128_halfLds_dim3_sp_op_CI_CI_unitstride_sbrr_dirReg
                                        ; -- End function
	.section	.AMDGPU.csdata,"",@progbits
; Kernel info:
; codeLenInByte = 13720
; NumSgprs: 17
; NumVgprs: 135
; ScratchSize: 0
; MemoryBound: 0
; FloatMode: 240
; IeeeMode: 1
; LDSByteSize: 0 bytes/workgroup (compile time only)
; SGPRBlocks: 2
; VGPRBlocks: 16
; NumSGPRsForWavesPerEU: 17
; NumVGPRsForWavesPerEU: 135
; Occupancy: 7
; WaveLimiterHint : 1
; COMPUTE_PGM_RSRC2:SCRATCH_EN: 0
; COMPUTE_PGM_RSRC2:USER_SGPR: 6
; COMPUTE_PGM_RSRC2:TRAP_HANDLER: 0
; COMPUTE_PGM_RSRC2:TGID_X_EN: 1
; COMPUTE_PGM_RSRC2:TGID_Y_EN: 0
; COMPUTE_PGM_RSRC2:TGID_Z_EN: 0
; COMPUTE_PGM_RSRC2:TIDIG_COMP_CNT: 0
	.text
	.p2alignl 6, 3214868480
	.fill 48, 4, 3214868480
	.type	__hip_cuid_e3615e524494e9aa,@object ; @__hip_cuid_e3615e524494e9aa
	.section	.bss,"aw",@nobits
	.globl	__hip_cuid_e3615e524494e9aa
__hip_cuid_e3615e524494e9aa:
	.byte	0                               ; 0x0
	.size	__hip_cuid_e3615e524494e9aa, 1

	.ident	"AMD clang version 19.0.0git (https://github.com/RadeonOpenCompute/llvm-project roc-6.4.0 25133 c7fe45cf4b819c5991fe208aaa96edf142730f1d)"
	.section	".note.GNU-stack","",@progbits
	.addrsig
	.addrsig_sym __hip_cuid_e3615e524494e9aa
	.amdgpu_metadata
---
amdhsa.kernels:
  - .args:
      - .actual_access:  read_only
        .address_space:  global
        .offset:         0
        .size:           8
        .value_kind:     global_buffer
      - .actual_access:  read_only
        .address_space:  global
        .offset:         8
        .size:           8
        .value_kind:     global_buffer
      - .actual_access:  read_only
        .address_space:  global
        .offset:         16
        .size:           8
        .value_kind:     global_buffer
      - .actual_access:  read_only
        .address_space:  global
        .offset:         24
        .size:           8
        .value_kind:     global_buffer
      - .offset:         32
        .size:           8
        .value_kind:     by_value
      - .actual_access:  read_only
        .address_space:  global
        .offset:         40
        .size:           8
        .value_kind:     global_buffer
      - .actual_access:  read_only
        .address_space:  global
        .offset:         48
        .size:           8
        .value_kind:     global_buffer
      - .offset:         56
        .size:           4
        .value_kind:     by_value
      - .actual_access:  read_only
        .address_space:  global
        .offset:         64
        .size:           8
        .value_kind:     global_buffer
      - .actual_access:  read_only
        .address_space:  global
        .offset:         72
        .size:           8
        .value_kind:     global_buffer
      - .actual_access:  read_only
        .address_space:  global
        .offset:         80
        .size:           8
        .value_kind:     global_buffer
      - .actual_access:  write_only
        .address_space:  global
        .offset:         88
        .size:           8
        .value_kind:     global_buffer
    .group_segment_fixed_size: 0
    .kernarg_segment_align: 8
    .kernarg_segment_size: 96
    .language:       OpenCL C
    .language_version:
      - 2
      - 0
    .max_flat_workgroup_size: 256
    .name:           fft_rtc_back_len4096_factors_8_16_4_8_wgs_256_tpt_128_halfLds_dim3_sp_op_CI_CI_unitstride_sbrr_dirReg
    .private_segment_fixed_size: 0
    .sgpr_count:     17
    .sgpr_spill_count: 0
    .symbol:         fft_rtc_back_len4096_factors_8_16_4_8_wgs_256_tpt_128_halfLds_dim3_sp_op_CI_CI_unitstride_sbrr_dirReg.kd
    .uniform_work_group_size: 1
    .uses_dynamic_stack: false
    .vgpr_count:     135
    .vgpr_spill_count: 0
    .wavefront_size: 32
    .workgroup_processor_mode: 1
amdhsa.target:   amdgcn-amd-amdhsa--gfx1030
amdhsa.version:
  - 1
  - 2
...

	.end_amdgpu_metadata
